;; amdgpu-corpus repo=zjin-lcf/HeCBench kind=compiled arch=gfx1201 opt=O3
	.amdgcn_target "amdgcn-amd-amdhsa--gfx1201"
	.amdhsa_code_object_version 6
	.text
	.protected	_Z9make_flagPcPiS_5BoxCU10outer_walliiii ; -- Begin function _Z9make_flagPcPiS_5BoxCU10outer_walliiii
	.globl	_Z9make_flagPcPiS_5BoxCU10outer_walliiii
	.p2align	8
	.type	_Z9make_flagPcPiS_5BoxCU10outer_walliiii,@function
_Z9make_flagPcPiS_5BoxCU10outer_walliiii: ; @_Z9make_flagPcPiS_5BoxCU10outer_walliiii
; %bb.0:
	s_load_b64 s[20:21], s[0:1], 0x28
	s_lshr_b32 s33, ttmp7, 16
	s_wait_kmcnt 0x0
	s_cmp_ge_i32 s33, s21
	s_cbranch_scc1 .LBB0_103
; %bb.1:
	s_clause 0x3
	s_load_b128 s[8:11], s[0:1], 0x30
	s_load_b128 s[4:7], s[0:1], 0x18
	s_load_b96 s[16:18], s[0:1], 0x48
	s_load_b64 s[26:27], s[0:1], 0x40
	s_and_b32 s2, ttmp7, 0xffff
	s_clause 0x1
	s_load_b128 s[12:15], s[0:1], 0x0
	s_load_b64 s[34:35], s[0:1], 0x10
	s_add_nc_u64 s[36:37], s[0:1], 0x58
	s_clause 0x1
	s_load_b64 s[38:39], s[0:1], 0x5c
	s_load_u16 s0, s[0:1], 0x66
	v_bfe_u32 v1, v0, 10, 10
	v_dual_mov_b32 v7, 1 :: v_dual_and_b32 v0, 0x3ff, v0
	v_dual_mov_b32 v8, 0 :: v_dual_mov_b32 v9, 9
	v_dual_mov_b32 v10, 4 :: v_dual_mov_b32 v11, 3
	;; [unrolled: 1-line block ×3, first 2 shown]
	s_wait_kmcnt 0x0
	s_cmp_gt_i32 s9, 6
	v_dual_mov_b32 v14, s9 :: v_dual_mov_b32 v15, s11
	s_cselect_b32 s48, -1, 0
	s_ashr_i32 s19, s9, 31
	s_cmp_lg_u32 s9, 7
	s_mov_b32 s28, s10
	s_cselect_b32 s49, -1, 0
	s_cmp_lg_u32 s9, 8
	v_mad_co_u64_u32 v[1:2], null, s2, s0, v[1:2]
	s_cselect_b32 s3, -1, 0
	s_cmp_eq_u32 s9, 4
	s_mul_i32 s38, s38, s0
	s_cselect_b32 s50, -1, 0
	s_cmp_gt_i32 s8, 6
	s_mov_b32 s30, s27
	s_cselect_b32 s51, -1, 0
	s_ashr_i32 s23, s8, 31
	s_cmp_lg_u32 s8, 7
	v_cmp_gt_i32_e64 s0, s7, v1
	s_cselect_b32 s52, -1, 0
	s_cmp_lg_u32 s8, 8
	s_mov_b32 s40, s26
	s_cselect_b32 s46, -1, 0
	s_cmp_eq_u32 s8, 4
	s_cselect_b32 s53, -1, 0
	s_add_co_i32 s54, s17, -1
	s_cmp_gt_i32 s11, 6
	s_mov_b32 s17, 0
	s_cselect_b32 s55, -1, 0
	s_ashr_i32 s25, s11, 31
	s_cmp_lg_u32 s11, 7
	s_mov_b32 s43, s17
	s_cselect_b32 s56, -1, 0
	s_cmp_lg_u32 s11, 8
	s_cselect_b32 s47, -1, 0
	s_cmp_eq_u32 s11, 4
	s_cselect_b32 s57, -1, 0
	s_cmp_gt_i32 s10, 6
	s_cselect_b32 s58, -1, 0
	s_ashr_i32 s29, s10, 31
	s_cmp_lg_u32 s10, 7
	s_cselect_b32 s59, -1, 0
	s_cmp_lg_u32 s10, 8
	s_cselect_b32 s77, -1, 0
	s_cmp_eq_u32 s10, 4
	s_cselect_b32 s60, -1, 0
	s_add_co_i32 s61, s18, -1
	s_cmp_gt_i32 s27, 6
	s_cselect_b32 s62, -1, 0
	s_ashr_i32 s31, s27, 31
	s_cmp_lg_u32 s27, 7
	s_cselect_b32 s63, -1, 0
	s_cmp_lg_u32 s27, 8
	s_cselect_b32 s78, -1, 0
	s_cmp_eq_u32 s27, 4
	s_cselect_b32 s64, -1, 0
	s_cmp_gt_i32 s26, 6
	s_cselect_b32 s65, -1, 0
	s_ashr_i32 s41, s26, 31
	s_cmp_lg_u32 s26, 7
	s_cselect_b32 s66, -1, 0
	s_cmp_lg_u32 s26, 8
	s_cselect_b32 s1, -1, 0
	s_cmp_eq_u32 s26, 4
	s_cselect_b32 s67, -1, 0
	s_abs_i32 s69, s7
	s_abs_i32 s68, s5
	s_cvt_f32_u32 s22, s69
	s_abs_i32 s70, s21
	s_cvt_f32_u32 s18, s68
	s_cvt_f32_u32 s24, s70
	v_rcp_iflag_f32_e32 v3, s22
	s_sub_co_i32 s71, 0, s69
	v_rcp_iflag_f32_e32 v2, s18
	v_rcp_iflag_f32_e32 v4, s24
	s_sub_co_i32 s45, 0, s68
	s_mov_b32 s18, s9
	s_mov_b32 s22, s8
	;; [unrolled: 1-line block ×3, first 2 shown]
	s_wait_alu 0xfffe
	s_xor_b32 s74, s3, -1
	s_xor_b32 s75, s46, -1
	v_readfirstlane_b32 s42, v3
	s_xor_b32 s76, s47, -1
	v_readfirstlane_b32 s2, v2
	v_readfirstlane_b32 s44, v4
	s_xor_b32 s77, s77, -1
	s_mul_f32 s42, s42, 0x4f7ffffe
	s_xor_b32 s78, s78, -1
	s_mul_f32 s2, s2, 0x4f7ffffe
	s_mul_f32 s44, s44, 0x4f7ffffe
	s_cvt_u32_f32 s72, s42
	s_sub_co_i32 s42, 0, s70
	s_wait_alu 0xfffe
	s_cvt_u32_f32 s2, s2
	s_cvt_u32_f32 s44, s44
	s_mul_i32 s71, s71, s72
	s_xor_b32 s9, s1, -1
	s_mul_hi_u32 s71, s72, s71
	s_wait_alu 0xfffe
	s_mul_i32 s45, s45, s2
	s_add_co_i32 s71, s72, s71
	s_not_b32 s72, s4
	s_mul_i32 s42, s42, s44
	s_mul_hi_u32 s45, s2, s45
	s_add_co_i32 s72, s72, s16
	s_mul_hi_u32 s73, s44, s42
	s_add_co_i32 s42, s2, s45
	s_add_co_i32 s2, s5, s72
	;; [unrolled: 1-line block ×3, first 2 shown]
	s_mov_b32 s45, s17
	s_sub_co_i32 s73, 0, s4
	s_wait_alu 0xfffe
	s_ashr_i32 s11, s2, 31
	s_abs_i32 s46, s2
	s_branch .LBB0_3
.LBB0_2:                                ;   in Loop: Header=BB0_3 Depth=1
	s_or_b32 exec_lo, exec_lo, s79
	s_add_co_i32 s33, s39, s33
	s_delay_alu instid0(SALU_CYCLE_1)
	s_cmp_ge_i32 s33, s21
	s_cbranch_scc1 .LBB0_103
.LBB0_3:                                ; =>This Loop Header: Depth=1
                                        ;     Child Loop BB0_6 Depth 2
                                        ;       Child Loop BB0_10 Depth 3
	s_and_saveexec_b32 s79, s0
	s_cbranch_execz .LBB0_2
; %bb.4:                                ;   in Loop: Header=BB0_3 Depth=1
	s_clause 0x1
	s_load_b32 s1, s[36:37], 0xc
	s_load_b32 s83, s[36:37], 0x0
	s_add_co_i32 s2, s33, s20
	s_add_co_i32 s4, s33, s21
	v_mov_b32_e32 v16, v1
	s_mov_b32 s82, 0
	s_wait_kmcnt 0x0
	s_and_b32 s47, s1, 0xffff
	s_wait_alu 0xfffe
	s_cmp_lg_u32 s2, 0
	v_mad_co_u64_u32 v[2:3], null, ttmp9, s47, v[0:1]
	s_cselect_b32 s80, -1, 0
	s_cmp_eq_u32 s2, s61
	s_mul_i32 s83, s83, s47
	s_cselect_b32 s81, -1, 0
	s_abs_i32 s16, s4
	s_delay_alu instid0(SALU_CYCLE_1)
	s_mul_u64 s[2:3], s[16:17], s[44:45]
	s_ashr_i32 s2, s4, 31
	s_wait_alu 0xfffe
	s_mul_i32 s1, s3, s70
	s_wait_alu 0xfffe
	s_sub_co_i32 s1, s16, s1
	s_wait_alu 0xfffe
	s_sub_co_i32 s3, s1, s70
	s_cmp_ge_u32 s1, s70
	s_wait_alu 0xfffe
	s_cselect_b32 s1, s3, s1
	s_wait_alu 0xfffe
	s_sub_co_i32 s3, s1, s70
	s_cmp_ge_u32 s1, s70
	s_wait_alu 0xfffe
	s_cselect_b32 s3, s3, s1
	v_cmp_gt_i32_e64 s1, s5, v2
	s_wait_alu 0xfffe
	s_xor_b32 s3, s3, s2
	s_wait_alu 0xfffe
	s_sub_co_i32 s84, s3, s2
	s_wait_alu 0xfffe
	s_mul_i32 s84, s84, s7
	s_branch .LBB0_6
.LBB0_5:                                ;   in Loop: Header=BB0_6 Depth=2
	s_wait_alu 0xfffe
	s_or_b32 exec_lo, exec_lo, s85
	v_add_nc_u32_e32 v16, s38, v16
	s_delay_alu instid0(VALU_DEP_1)
	v_cmp_le_i32_e32 vcc_lo, s7, v16
	s_or_b32 s82, vcc_lo, s82
	s_wait_alu 0xfffe
	s_and_not1_b32 exec_lo, exec_lo, s82
	s_cbranch_execz .LBB0_2
.LBB0_6:                                ;   Parent Loop BB0_3 Depth=1
                                        ; =>  This Loop Header: Depth=2
                                        ;       Child Loop BB0_10 Depth 3
	s_and_saveexec_b32 s85, s1
	s_cbranch_execz .LBB0_5
; %bb.7:                                ;   in Loop: Header=BB0_6 Depth=2
	v_dual_mov_b32 v18, v2 :: v_dual_add_nc_u32 v3, s7, v16
	s_mov_b32 s86, 0
	s_delay_alu instid0(VALU_DEP_1) | instskip(NEXT) | instid1(VALU_DEP_1)
	v_sub_nc_u32_e32 v4, 0, v3
	v_max_i32_e32 v4, v3, v4
	s_delay_alu instid0(VALU_DEP_1) | instskip(NEXT) | instid1(VALU_DEP_1)
	v_mul_hi_u32 v5, v4, s71
	v_mul_lo_u32 v5, v5, s69
	s_delay_alu instid0(VALU_DEP_1) | instskip(NEXT) | instid1(VALU_DEP_1)
	v_sub_nc_u32_e32 v4, v4, v5
	v_subrev_nc_u32_e32 v5, s69, v4
	v_cmp_le_u32_e32 vcc_lo, s69, v4
	s_wait_alu 0xfffd
	s_delay_alu instid0(VALU_DEP_2) | instskip(SKIP_1) | instid1(VALU_DEP_2)
	v_cndmask_b32_e32 v4, v4, v5, vcc_lo
	v_ashrrev_i32_e32 v3, 31, v3
	v_subrev_nc_u32_e32 v5, s69, v4
	v_cmp_le_u32_e32 vcc_lo, s69, v4
	s_wait_alu 0xfffd
	s_delay_alu instid0(VALU_DEP_2) | instskip(NEXT) | instid1(VALU_DEP_1)
	v_cndmask_b32_e32 v4, v4, v5, vcc_lo
	v_xor_b32_e32 v4, v4, v3
	s_delay_alu instid0(VALU_DEP_1) | instskip(SKIP_2) | instid1(VALU_DEP_2)
	v_sub_nc_u32_e32 v3, v4, v3
	v_add_nc_u32_e32 v4, s6, v16
	s_wait_alu 0xfffe
	v_add_nc_u32_e32 v3, s84, v3
	s_delay_alu instid0(VALU_DEP_2) | instskip(SKIP_1) | instid1(VALU_DEP_3)
	v_cmp_ne_u32_e64 s2, 0, v4
	v_cmp_eq_u32_e64 s3, s54, v4
	v_mul_lo_u32 v17, v3, s5
	s_branch .LBB0_10
.LBB0_8:                                ;   in Loop: Header=BB0_10 Depth=3
	s_wait_alu 0xfffe
	s_or_b32 exec_lo, exec_lo, s4
.LBB0_9:                                ;   in Loop: Header=BB0_10 Depth=3
	v_add_nc_u32_e32 v18, s83, v18
	s_delay_alu instid0(VALU_DEP_1) | instskip(SKIP_1) | instid1(SALU_CYCLE_1)
	v_cmp_le_i32_e32 vcc_lo, s5, v18
	s_or_b32 s86, vcc_lo, s86
	s_and_not1_b32 exec_lo, exec_lo, s86
	s_cbranch_execz .LBB0_5
.LBB0_10:                               ;   Parent Loop BB0_3 Depth=1
                                        ;     Parent Loop BB0_6 Depth=2
                                        ; =>    This Inner Loop Header: Depth=3
	s_mov_b32 s4, exec_lo
	v_cmpx_ne_u32_e64 s73, v18
	s_wait_alu 0xfffe
	s_xor_b32 s16, exec_lo, s4
	s_cbranch_execnz .LBB0_13
; %bb.11:                               ;   in Loop: Header=BB0_10 Depth=3
	s_and_not1_saveexec_b32 s47, s16
	s_cbranch_execnz .LBB0_28
.LBB0_12:                               ;   in Loop: Header=BB0_10 Depth=3
	s_wait_alu 0xfffe
	s_or_b32 exec_lo, exec_lo, s47
	s_and_saveexec_b32 s4, s2
	s_wait_alu 0xfffe
	s_xor_b32 s16, exec_lo, s4
	s_cbranch_execnz .LBB0_42
	s_branch .LBB0_57
.LBB0_13:                               ;   in Loop: Header=BB0_10 Depth=3
	s_mov_b32 s87, exec_lo
	v_cmpx_eq_u32_e64 s72, v18
	s_cbranch_execz .LBB0_27
; %bb.14:                               ;   in Loop: Header=BB0_10 Depth=3
	s_mov_b32 s47, s17
	s_wait_alu 0xfffe
	s_mul_u64 s[88:89], s[46:47], s[42:43]
	s_wait_alu 0xfffe
	s_mul_i32 s4, s89, s68
	s_wait_alu 0xfffe
	s_sub_co_i32 s4, s46, s4
	s_wait_alu 0xfffe
	s_sub_co_i32 s47, s4, s68
	s_cmp_ge_u32 s4, s68
	s_wait_alu 0xfffe
	s_cselect_b32 s4, s47, s4
	s_wait_alu 0xfffe
	s_sub_co_i32 s47, s4, s68
	s_cmp_ge_u32 s4, s68
	s_wait_alu 0xfffe
	s_cselect_b32 s4, s47, s4
	s_and_not1_b32 vcc_lo, exec_lo, s48
	s_wait_alu 0xfffe
	s_xor_b32 s4, s4, s11
	s_wait_alu 0xfffe
	s_sub_co_i32 s4, s4, s11
	s_wait_alu 0xfffe
	v_add_nc_u32_e32 v5, s4, v17
	s_delay_alu instid0(VALU_DEP_1)
	v_ashrrev_i32_e32 v6, 31, v5
	s_cbranch_vccnz .LBB0_16
; %bb.15:                               ;   in Loop: Header=BB0_10 Depth=3
	v_add_co_u32 v3, vcc_lo, s34, v5
	s_wait_alu 0xfffd
	s_delay_alu instid0(VALU_DEP_2)
	v_add_co_ci_u32_e64 v4, null, s35, v6, vcc_lo
	global_store_b8 v[3:4], v7, off
.LBB0_16:                               ;   in Loop: Header=BB0_10 Depth=3
	v_add_co_u32 v3, vcc_lo, s12, v5
	s_wait_alu 0xfffd
	s_delay_alu instid0(VALU_DEP_2)
	v_add_co_ci_u32_e64 v4, null, s13, v6, vcc_lo
	s_getpc_b64 s[88:89]
	s_wait_alu 0xfffe
	s_sext_i32_i16 s89, s89
	s_add_co_u32 s88, s88, _ZL3C_p@gotpcrel32@lo+12
	s_wait_alu 0xfffe
	s_add_co_ci_u32 s89, s89, _ZL3C_p@gotpcrel32@hi+24
	s_mov_b32 s4, exec_lo
	s_load_b64 s[88:89], s[88:89], 0x0
	global_load_u8 v19, v[3:4], off
	s_wait_loadcnt 0x0
	v_bfe_i32 v20, v19, 0, 8
	s_delay_alu instid0(VALU_DEP_1) | instskip(SKIP_3) | instid1(VALU_DEP_2)
	v_ashrrev_i32_e32 v21, 31, v20
	s_wait_kmcnt 0x0
	v_add_co_u32 v20, vcc_lo, s88, v20
	s_wait_alu 0xfffd
	v_add_co_ci_u32_e64 v21, null, s89, v21, vcc_lo
	s_add_nc_u64 s[88:89], s[88:89], s[18:19]
	s_clause 0x1
	global_load_i8 v20, v[20:21], off
	global_load_i8 v21, v8, s[88:89]
	s_wait_loadcnt 0x0
	v_cmpx_ge_i16_e64 v20, v21
	s_xor_b32 s47, exec_lo, s4
	s_cbranch_execz .LBB0_24
; %bb.17:                               ;   in Loop: Header=BB0_10 Depth=3
	v_and_b32_e32 v5, 0xff, v19
	s_and_not1_b32 vcc_lo, exec_lo, s49
	s_delay_alu instid0(VALU_DEP_1)
	v_cmp_ne_u16_e64 s4, 4, v5
	s_wait_alu 0xfffe
	s_cbranch_vccnz .LBB0_19
; %bb.18:                               ;   in Loop: Header=BB0_10 Depth=3
	v_add_nc_u16 v6, v19, -9
	s_delay_alu instid0(VALU_DEP_1) | instskip(NEXT) | instid1(VALU_DEP_1)
	v_and_b32_e32 v6, 0xff, v6
	v_cmp_lt_u16_e32 vcc_lo, 0xfd, v6
	s_or_b32 s88, s74, vcc_lo
	s_wait_alu 0xfffe
	s_and_b32 s4, s4, s88
	s_wait_alu 0xfffe
	s_and_b32 s4, s4, exec_lo
	s_cbranch_execz .LBB0_20
	s_branch .LBB0_21
.LBB0_19:                               ;   in Loop: Header=BB0_10 Depth=3
	s_mov_b32 s4, 0
.LBB0_20:                               ;   in Loop: Header=BB0_10 Depth=3
	v_cmp_ne_u16_e32 vcc_lo, 4, v5
	s_wait_alu 0xfffe
	s_and_not1_b32 s4, s4, exec_lo
	s_and_b32 s88, vcc_lo, exec_lo
	s_wait_alu 0xfffe
	s_or_b32 s4, s4, s88
.LBB0_21:                               ;   in Loop: Header=BB0_10 Depth=3
	s_wait_alu 0xfffe
	s_and_saveexec_b32 s88, s4
	s_cbranch_execz .LBB0_23
; %bb.22:                               ;   in Loop: Header=BB0_10 Depth=3
	global_store_b8 v[3:4], v9, off
.LBB0_23:                               ;   in Loop: Header=BB0_10 Depth=3
	s_wait_alu 0xfffe
	s_or_b32 exec_lo, exec_lo, s88
                                        ; implicit-def: $vgpr3_vgpr4
                                        ; implicit-def: $vgpr5_vgpr6
.LBB0_24:                               ;   in Loop: Header=BB0_10 Depth=3
	s_wait_alu 0xfffe
	s_and_not1_saveexec_b32 s4, s47
	s_cbranch_execz .LBB0_27
; %bb.25:                               ;   in Loop: Header=BB0_10 Depth=3
	s_and_not1_b32 vcc_lo, exec_lo, s50
	global_store_b8 v[3:4], v14, off
	s_wait_alu 0xfffe
	s_cbranch_vccnz .LBB0_27
; %bb.26:                               ;   in Loop: Header=BB0_10 Depth=3
	v_lshlrev_b64_e32 v[3:4], 2, v[5:6]
	s_delay_alu instid0(VALU_DEP_1) | instskip(SKIP_1) | instid1(VALU_DEP_2)
	v_add_co_u32 v3, vcc_lo, s14, v3
	s_wait_alu 0xfffd
	v_add_co_ci_u32_e64 v4, null, s15, v4, vcc_lo
	global_store_b32 v[3:4], v10, off
.LBB0_27:                               ;   in Loop: Header=BB0_10 Depth=3
	s_or_b32 exec_lo, exec_lo, s87
	s_and_not1_saveexec_b32 s47, s16
	s_cbranch_execz .LBB0_12
.LBB0_28:                               ;   in Loop: Header=BB0_10 Depth=3
	s_add_co_i32 s4, s5, s73
	s_wait_alu 0xfffe
	s_abs_i32 s16, s4
	s_ashr_i32 s4, s4, 31
	s_mul_u64 s[88:89], s[16:17], s[42:43]
	s_wait_alu 0xfffe
	s_mul_i32 s87, s89, s68
	s_delay_alu instid0(SALU_CYCLE_1) | instskip(NEXT) | instid1(SALU_CYCLE_1)
	s_sub_co_i32 s16, s16, s87
	s_sub_co_i32 s87, s16, s68
	s_cmp_ge_u32 s16, s68
	s_cselect_b32 s16, s87, s16
	s_delay_alu instid0(SALU_CYCLE_1) | instskip(SKIP_4) | instid1(SALU_CYCLE_1)
	s_sub_co_i32 s87, s16, s68
	s_cmp_ge_u32 s16, s68
	s_cselect_b32 s16, s87, s16
	s_and_not1_b32 vcc_lo, exec_lo, s51
	s_xor_b32 s16, s16, s4
	s_sub_co_i32 s4, s16, s4
	s_wait_alu 0xfffe
	v_add_nc_u32_e32 v5, s4, v17
	s_delay_alu instid0(VALU_DEP_1)
	v_ashrrev_i32_e32 v6, 31, v5
	s_cbranch_vccnz .LBB0_30
; %bb.29:                               ;   in Loop: Header=BB0_10 Depth=3
	v_add_co_u32 v3, vcc_lo, s34, v5
	s_wait_alu 0xfffd
	s_delay_alu instid0(VALU_DEP_2)
	v_add_co_ci_u32_e64 v4, null, s35, v6, vcc_lo
	global_store_b8 v[3:4], v8, off
.LBB0_30:                               ;   in Loop: Header=BB0_10 Depth=3
	v_add_co_u32 v3, vcc_lo, s12, v5
	s_wait_alu 0xfffd
	s_delay_alu instid0(VALU_DEP_2)
	v_add_co_ci_u32_e64 v4, null, s13, v6, vcc_lo
	s_getpc_b64 s[88:89]
	s_wait_alu 0xfffe
	s_sext_i32_i16 s89, s89
	s_add_co_u32 s88, s88, _ZL3C_p@gotpcrel32@lo+12
	s_wait_alu 0xfffe
	s_add_co_ci_u32 s89, s89, _ZL3C_p@gotpcrel32@hi+24
	s_mov_b32 s4, exec_lo
	s_load_b64 s[88:89], s[88:89], 0x0
	global_load_u8 v19, v[3:4], off
	s_wait_loadcnt 0x0
	v_bfe_i32 v20, v19, 0, 8
	s_delay_alu instid0(VALU_DEP_1) | instskip(SKIP_3) | instid1(VALU_DEP_2)
	v_ashrrev_i32_e32 v21, 31, v20
	s_wait_kmcnt 0x0
	v_add_co_u32 v20, vcc_lo, s88, v20
	s_wait_alu 0xfffd
	v_add_co_ci_u32_e64 v21, null, s89, v21, vcc_lo
	s_add_nc_u64 s[88:89], s[88:89], s[22:23]
	s_clause 0x1
	global_load_i8 v20, v[20:21], off
	global_load_i8 v21, v8, s[88:89]
	s_wait_loadcnt 0x0
	v_cmpx_ge_i16_e64 v20, v21
	s_xor_b32 s16, exec_lo, s4
	s_cbranch_execz .LBB0_38
; %bb.31:                               ;   in Loop: Header=BB0_10 Depth=3
	v_and_b32_e32 v5, 0xff, v19
	s_and_not1_b32 vcc_lo, exec_lo, s52
	s_delay_alu instid0(VALU_DEP_1)
	v_cmp_ne_u16_e64 s4, 4, v5
	s_wait_alu 0xfffe
	s_cbranch_vccnz .LBB0_33
; %bb.32:                               ;   in Loop: Header=BB0_10 Depth=3
	v_add_nc_u16 v6, v19, -9
	s_delay_alu instid0(VALU_DEP_1) | instskip(NEXT) | instid1(VALU_DEP_1)
	v_and_b32_e32 v6, 0xff, v6
	v_cmp_lt_u16_e32 vcc_lo, 0xfd, v6
	s_or_b32 s87, s75, vcc_lo
	s_delay_alu instid0(SALU_CYCLE_1)
	s_and_b32 s4, s4, s87
	s_wait_alu 0xfffe
	s_and_b32 s4, s4, exec_lo
	s_cbranch_execz .LBB0_34
	s_branch .LBB0_35
.LBB0_33:                               ;   in Loop: Header=BB0_10 Depth=3
	s_mov_b32 s4, 0
.LBB0_34:                               ;   in Loop: Header=BB0_10 Depth=3
	v_cmp_ne_u16_e32 vcc_lo, 4, v5
	s_wait_alu 0xfffe
	s_and_not1_b32 s4, s4, exec_lo
	s_and_b32 s87, vcc_lo, exec_lo
	s_wait_alu 0xfffe
	s_or_b32 s4, s4, s87
.LBB0_35:                               ;   in Loop: Header=BB0_10 Depth=3
	s_wait_alu 0xfffe
	s_and_saveexec_b32 s87, s4
	s_cbranch_execz .LBB0_37
; %bb.36:                               ;   in Loop: Header=BB0_10 Depth=3
	global_store_b8 v[3:4], v9, off
.LBB0_37:                               ;   in Loop: Header=BB0_10 Depth=3
	s_or_b32 exec_lo, exec_lo, s87
                                        ; implicit-def: $vgpr3_vgpr4
                                        ; implicit-def: $vgpr5_vgpr6
.LBB0_38:                               ;   in Loop: Header=BB0_10 Depth=3
	s_and_not1_saveexec_b32 s4, s16
	s_cbranch_execz .LBB0_41
; %bb.39:                               ;   in Loop: Header=BB0_10 Depth=3
	v_mov_b32_e32 v19, s8
	s_and_not1_b32 vcc_lo, exec_lo, s53
	global_store_b8 v[3:4], v19, off
	s_wait_alu 0xfffe
	s_cbranch_vccnz .LBB0_41
; %bb.40:                               ;   in Loop: Header=BB0_10 Depth=3
	v_lshlrev_b64_e32 v[3:4], 2, v[5:6]
	s_delay_alu instid0(VALU_DEP_1) | instskip(SKIP_1) | instid1(VALU_DEP_2)
	v_add_co_u32 v3, vcc_lo, s14, v3
	s_wait_alu 0xfffd
	v_add_co_ci_u32_e64 v4, null, s15, v4, vcc_lo
	global_store_b32 v[3:4], v10, off
.LBB0_41:                               ;   in Loop: Header=BB0_10 Depth=3
	s_wait_alu 0xfffe
	s_or_b32 exec_lo, exec_lo, s4
	s_delay_alu instid0(SALU_CYCLE_1)
	s_or_b32 exec_lo, exec_lo, s47
	s_and_saveexec_b32 s4, s2
	s_wait_alu 0xfffe
	s_xor_b32 s16, exec_lo, s4
	s_cbranch_execz .LBB0_57
.LBB0_42:                               ;   in Loop: Header=BB0_10 Depth=3
	s_and_saveexec_b32 s47, s3
	s_cbranch_execz .LBB0_56
; %bb.43:                               ;   in Loop: Header=BB0_10 Depth=3
	v_add_nc_u32_e32 v3, s5, v18
	s_delay_alu instid0(VALU_DEP_1) | instskip(NEXT) | instid1(VALU_DEP_1)
	v_sub_nc_u32_e32 v4, 0, v3
	v_max_i32_e32 v4, v3, v4
	s_delay_alu instid0(VALU_DEP_1) | instskip(NEXT) | instid1(VALU_DEP_1)
	v_mul_hi_u32 v5, v4, s42
	v_mul_lo_u32 v5, v5, s68
	s_delay_alu instid0(VALU_DEP_1) | instskip(NEXT) | instid1(VALU_DEP_1)
	v_sub_nc_u32_e32 v4, v4, v5
	v_subrev_nc_u32_e32 v5, s68, v4
	v_cmp_le_u32_e32 vcc_lo, s68, v4
	s_wait_alu 0xfffd
	s_delay_alu instid0(VALU_DEP_2) | instskip(SKIP_1) | instid1(VALU_DEP_2)
	v_cndmask_b32_e32 v4, v4, v5, vcc_lo
	v_ashrrev_i32_e32 v3, 31, v3
	v_subrev_nc_u32_e32 v5, s68, v4
	v_cmp_le_u32_e32 vcc_lo, s68, v4
	s_wait_alu 0xfffd
	s_delay_alu instid0(VALU_DEP_2) | instskip(SKIP_1) | instid1(VALU_DEP_1)
	v_cndmask_b32_e32 v4, v4, v5, vcc_lo
	s_and_not1_b32 vcc_lo, exec_lo, s55
	v_xor_b32_e32 v4, v4, v3
	s_delay_alu instid0(VALU_DEP_1) | instskip(NEXT) | instid1(VALU_DEP_1)
	v_sub_nc_u32_e32 v3, v4, v3
	v_add_nc_u32_e32 v5, v17, v3
	s_delay_alu instid0(VALU_DEP_1)
	v_ashrrev_i32_e32 v6, 31, v5
	s_wait_alu 0xfffe
	s_cbranch_vccnz .LBB0_45
; %bb.44:                               ;   in Loop: Header=BB0_10 Depth=3
	v_add_co_u32 v3, vcc_lo, s34, v5
	s_wait_alu 0xfffd
	v_add_co_ci_u32_e64 v4, null, s35, v6, vcc_lo
	global_store_b8 v[3:4], v11, off
.LBB0_45:                               ;   in Loop: Header=BB0_10 Depth=3
	v_add_co_u32 v3, vcc_lo, s12, v5
	s_wait_alu 0xfffd
	v_add_co_ci_u32_e64 v4, null, s13, v6, vcc_lo
	s_getpc_b64 s[88:89]
	s_wait_alu 0xfffe
	s_sext_i32_i16 s89, s89
	s_add_co_u32 s88, s88, _ZL3C_p@gotpcrel32@lo+12
	s_wait_alu 0xfffe
	s_add_co_ci_u32 s89, s89, _ZL3C_p@gotpcrel32@hi+24
	s_mov_b32 s4, exec_lo
	s_load_b64 s[88:89], s[88:89], 0x0
	global_load_u8 v19, v[3:4], off
	s_wait_loadcnt 0x0
	v_bfe_i32 v20, v19, 0, 8
	s_delay_alu instid0(VALU_DEP_1) | instskip(SKIP_3) | instid1(VALU_DEP_2)
	v_ashrrev_i32_e32 v21, 31, v20
	s_wait_kmcnt 0x0
	v_add_co_u32 v20, vcc_lo, s88, v20
	s_wait_alu 0xfffd
	v_add_co_ci_u32_e64 v21, null, s89, v21, vcc_lo
	s_add_nc_u64 s[88:89], s[88:89], s[24:25]
	s_clause 0x1
	global_load_i8 v20, v[20:21], off
	global_load_i8 v21, v8, s[88:89]
	s_wait_loadcnt 0x0
	v_cmpx_ge_i16_e64 v20, v21
	s_xor_b32 s87, exec_lo, s4
	s_cbranch_execz .LBB0_53
; %bb.46:                               ;   in Loop: Header=BB0_10 Depth=3
	v_and_b32_e32 v5, 0xff, v19
	s_and_not1_b32 vcc_lo, exec_lo, s56
	s_delay_alu instid0(VALU_DEP_1)
	v_cmp_ne_u16_e64 s4, 4, v5
	s_wait_alu 0xfffe
	s_cbranch_vccnz .LBB0_48
; %bb.47:                               ;   in Loop: Header=BB0_10 Depth=3
	v_add_nc_u16 v6, v19, -9
	s_delay_alu instid0(VALU_DEP_1) | instskip(NEXT) | instid1(VALU_DEP_1)
	v_and_b32_e32 v6, 0xff, v6
	v_cmp_lt_u16_e32 vcc_lo, 0xfd, v6
	s_or_b32 s88, s76, vcc_lo
	s_wait_alu 0xfffe
	s_and_b32 s4, s4, s88
	s_wait_alu 0xfffe
	s_and_b32 s4, s4, exec_lo
	s_cbranch_execz .LBB0_49
	s_branch .LBB0_50
.LBB0_48:                               ;   in Loop: Header=BB0_10 Depth=3
	s_mov_b32 s4, 0
.LBB0_49:                               ;   in Loop: Header=BB0_10 Depth=3
	v_cmp_ne_u16_e32 vcc_lo, 4, v5
	s_wait_alu 0xfffe
	s_and_not1_b32 s4, s4, exec_lo
	s_and_b32 s88, vcc_lo, exec_lo
	s_wait_alu 0xfffe
	s_or_b32 s4, s4, s88
.LBB0_50:                               ;   in Loop: Header=BB0_10 Depth=3
	s_wait_alu 0xfffe
	s_and_saveexec_b32 s88, s4
	s_cbranch_execz .LBB0_52
; %bb.51:                               ;   in Loop: Header=BB0_10 Depth=3
	global_store_b8 v[3:4], v9, off
.LBB0_52:                               ;   in Loop: Header=BB0_10 Depth=3
	s_wait_alu 0xfffe
	s_or_b32 exec_lo, exec_lo, s88
                                        ; implicit-def: $vgpr3_vgpr4
                                        ; implicit-def: $vgpr5_vgpr6
.LBB0_53:                               ;   in Loop: Header=BB0_10 Depth=3
	s_and_not1_saveexec_b32 s4, s87
	s_cbranch_execz .LBB0_56
; %bb.54:                               ;   in Loop: Header=BB0_10 Depth=3
	s_and_not1_b32 vcc_lo, exec_lo, s57
	global_store_b8 v[3:4], v15, off
	s_wait_alu 0xfffe
	s_cbranch_vccnz .LBB0_56
; %bb.55:                               ;   in Loop: Header=BB0_10 Depth=3
	v_lshlrev_b64_e32 v[3:4], 2, v[5:6]
	s_delay_alu instid0(VALU_DEP_1) | instskip(SKIP_1) | instid1(VALU_DEP_2)
	v_add_co_u32 v3, vcc_lo, s14, v3
	s_wait_alu 0xfffd
	v_add_co_ci_u32_e64 v4, null, s15, v4, vcc_lo
	global_store_b32 v[3:4], v10, off
.LBB0_56:                               ;   in Loop: Header=BB0_10 Depth=3
	s_wait_alu 0xfffe
	s_or_b32 exec_lo, exec_lo, s47
.LBB0_57:                               ;   in Loop: Header=BB0_10 Depth=3
	s_or_saveexec_b32 s16, s16
	v_add_nc_u32_e32 v20, s5, v18
	s_delay_alu instid0(VALU_DEP_1)
	v_ashrrev_i32_e32 v19, 31, v20
	v_sub_nc_u32_e32 v21, 0, v20
	s_xor_b32 exec_lo, exec_lo, s16
	s_cbranch_execz .LBB0_72
; %bb.58:                               ;   in Loop: Header=BB0_10 Depth=3
	s_delay_alu instid0(VALU_DEP_1) | instskip(NEXT) | instid1(VALU_DEP_1)
	v_max_i32_e32 v3, v20, v21
	v_mul_hi_u32 v4, v3, s42
	s_delay_alu instid0(VALU_DEP_1) | instskip(NEXT) | instid1(VALU_DEP_1)
	v_mul_lo_u32 v4, v4, s68
	v_sub_nc_u32_e32 v3, v3, v4
	s_delay_alu instid0(VALU_DEP_1) | instskip(SKIP_2) | instid1(VALU_DEP_2)
	v_subrev_nc_u32_e32 v4, s68, v3
	v_cmp_le_u32_e32 vcc_lo, s68, v3
	s_wait_alu 0xfffd
	v_cndmask_b32_e32 v3, v3, v4, vcc_lo
	s_delay_alu instid0(VALU_DEP_1) | instskip(SKIP_2) | instid1(VALU_DEP_2)
	v_subrev_nc_u32_e32 v4, s68, v3
	v_cmp_le_u32_e32 vcc_lo, s68, v3
	s_wait_alu 0xfffd
	v_cndmask_b32_e32 v3, v3, v4, vcc_lo
	s_and_not1_b32 vcc_lo, exec_lo, s58
	s_delay_alu instid0(VALU_DEP_1) | instskip(NEXT) | instid1(VALU_DEP_1)
	v_xor_b32_e32 v3, v3, v19
	v_sub_nc_u32_e32 v3, v3, v19
	s_delay_alu instid0(VALU_DEP_1) | instskip(NEXT) | instid1(VALU_DEP_1)
	v_add_nc_u32_e32 v5, v17, v3
	v_ashrrev_i32_e32 v6, 31, v5
	s_wait_alu 0xfffe
	s_cbranch_vccnz .LBB0_60
; %bb.59:                               ;   in Loop: Header=BB0_10 Depth=3
	v_add_co_u32 v3, vcc_lo, s34, v5
	s_wait_alu 0xfffd
	v_add_co_ci_u32_e64 v4, null, s35, v6, vcc_lo
	global_store_b8 v[3:4], v12, off
.LBB0_60:                               ;   in Loop: Header=BB0_10 Depth=3
	v_add_co_u32 v3, vcc_lo, s12, v5
	s_wait_alu 0xfffd
	v_add_co_ci_u32_e64 v4, null, s13, v6, vcc_lo
	s_getpc_b64 s[88:89]
	s_wait_alu 0xfffe
	s_sext_i32_i16 s89, s89
	s_add_co_u32 s88, s88, _ZL3C_p@gotpcrel32@lo+12
	s_wait_alu 0xfffe
	s_add_co_ci_u32 s89, s89, _ZL3C_p@gotpcrel32@hi+24
	s_mov_b32 s4, exec_lo
	s_load_b64 s[88:89], s[88:89], 0x0
	global_load_u8 v22, v[3:4], off
	s_wait_loadcnt 0x0
	v_bfe_i32 v23, v22, 0, 8
	s_delay_alu instid0(VALU_DEP_1) | instskip(SKIP_3) | instid1(VALU_DEP_2)
	v_ashrrev_i32_e32 v24, 31, v23
	s_wait_kmcnt 0x0
	v_add_co_u32 v23, vcc_lo, s88, v23
	s_wait_alu 0xfffd
	v_add_co_ci_u32_e64 v24, null, s89, v24, vcc_lo
	s_add_nc_u64 s[88:89], s[88:89], s[28:29]
	s_clause 0x1
	global_load_i8 v23, v[23:24], off
	global_load_i8 v24, v8, s[88:89]
	s_wait_loadcnt 0x0
	v_cmpx_ge_i16_e64 v23, v24
	s_xor_b32 s47, exec_lo, s4
	s_cbranch_execz .LBB0_68
; %bb.61:                               ;   in Loop: Header=BB0_10 Depth=3
	v_and_b32_e32 v5, 0xff, v22
	s_and_not1_b32 vcc_lo, exec_lo, s59
	s_delay_alu instid0(VALU_DEP_1)
	v_cmp_ne_u16_e64 s4, 4, v5
	s_wait_alu 0xfffe
	s_cbranch_vccnz .LBB0_63
; %bb.62:                               ;   in Loop: Header=BB0_10 Depth=3
	v_add_nc_u16 v6, v22, -9
	s_delay_alu instid0(VALU_DEP_1) | instskip(NEXT) | instid1(VALU_DEP_1)
	v_and_b32_e32 v6, 0xff, v6
	v_cmp_lt_u16_e32 vcc_lo, 0xfd, v6
	s_or_b32 s87, s77, vcc_lo
	s_delay_alu instid0(SALU_CYCLE_1)
	s_and_b32 s4, s4, s87
	s_wait_alu 0xfffe
	s_and_b32 s4, s4, exec_lo
	s_cbranch_execz .LBB0_64
	s_branch .LBB0_65
.LBB0_63:                               ;   in Loop: Header=BB0_10 Depth=3
	s_mov_b32 s4, 0
.LBB0_64:                               ;   in Loop: Header=BB0_10 Depth=3
	v_cmp_ne_u16_e32 vcc_lo, 4, v5
	s_wait_alu 0xfffe
	s_and_not1_b32 s4, s4, exec_lo
	s_and_b32 s87, vcc_lo, exec_lo
	s_wait_alu 0xfffe
	s_or_b32 s4, s4, s87
.LBB0_65:                               ;   in Loop: Header=BB0_10 Depth=3
	s_wait_alu 0xfffe
	s_and_saveexec_b32 s87, s4
	s_cbranch_execz .LBB0_67
; %bb.66:                               ;   in Loop: Header=BB0_10 Depth=3
	global_store_b8 v[3:4], v9, off
.LBB0_67:                               ;   in Loop: Header=BB0_10 Depth=3
	s_or_b32 exec_lo, exec_lo, s87
                                        ; implicit-def: $vgpr3_vgpr4
                                        ; implicit-def: $vgpr5_vgpr6
.LBB0_68:                               ;   in Loop: Header=BB0_10 Depth=3
	s_wait_alu 0xfffe
	s_and_not1_saveexec_b32 s4, s47
	s_cbranch_execz .LBB0_71
; %bb.69:                               ;   in Loop: Header=BB0_10 Depth=3
	v_mov_b32_e32 v22, s10
	s_and_not1_b32 vcc_lo, exec_lo, s60
	global_store_b8 v[3:4], v22, off
	s_wait_alu 0xfffe
	s_cbranch_vccnz .LBB0_71
; %bb.70:                               ;   in Loop: Header=BB0_10 Depth=3
	v_lshlrev_b64_e32 v[3:4], 2, v[5:6]
	s_delay_alu instid0(VALU_DEP_1) | instskip(SKIP_1) | instid1(VALU_DEP_2)
	v_add_co_u32 v3, vcc_lo, s14, v3
	s_wait_alu 0xfffd
	v_add_co_ci_u32_e64 v4, null, s15, v4, vcc_lo
	global_store_b32 v[3:4], v10, off
.LBB0_71:                               ;   in Loop: Header=BB0_10 Depth=3
	s_wait_alu 0xfffe
	s_or_b32 exec_lo, exec_lo, s4
.LBB0_72:                               ;   in Loop: Header=BB0_10 Depth=3
	s_delay_alu instid0(SALU_CYCLE_1) | instskip(NEXT) | instid1(SALU_CYCLE_1)
	s_or_b32 exec_lo, exec_lo, s16
	s_and_b32 vcc_lo, exec_lo, s80
	s_wait_alu 0xfffe
	s_cbranch_vccz .LBB0_79
; %bb.73:                               ;   in Loop: Header=BB0_10 Depth=3
	s_and_not1_b32 vcc_lo, exec_lo, s81
	s_wait_alu 0xfffe
	s_cbranch_vccnz .LBB0_89
; %bb.74:                               ;   in Loop: Header=BB0_10 Depth=3
	v_max_i32_e32 v3, v20, v21
	s_delay_alu instid0(VALU_DEP_1) | instskip(NEXT) | instid1(VALU_DEP_1)
	v_mul_hi_u32 v4, v3, s42
	v_mul_lo_u32 v4, v4, s68
	s_delay_alu instid0(VALU_DEP_1) | instskip(NEXT) | instid1(VALU_DEP_1)
	v_sub_nc_u32_e32 v3, v3, v4
	v_subrev_nc_u32_e32 v4, s68, v3
	v_cmp_le_u32_e32 vcc_lo, s68, v3
	s_wait_alu 0xfffd
	s_delay_alu instid0(VALU_DEP_2) | instskip(NEXT) | instid1(VALU_DEP_1)
	v_cndmask_b32_e32 v3, v3, v4, vcc_lo
	v_subrev_nc_u32_e32 v4, s68, v3
	v_cmp_le_u32_e32 vcc_lo, s68, v3
	s_wait_alu 0xfffd
	s_delay_alu instid0(VALU_DEP_2) | instskip(SKIP_1) | instid1(VALU_DEP_1)
	v_cndmask_b32_e32 v3, v3, v4, vcc_lo
	s_and_not1_b32 vcc_lo, exec_lo, s62
	v_xor_b32_e32 v3, v3, v19
	s_delay_alu instid0(VALU_DEP_1) | instskip(NEXT) | instid1(VALU_DEP_1)
	v_sub_nc_u32_e32 v3, v3, v19
	v_add_nc_u32_e32 v5, v17, v3
	s_delay_alu instid0(VALU_DEP_1)
	v_ashrrev_i32_e32 v6, 31, v5
	s_wait_alu 0xfffe
	s_cbranch_vccnz .LBB0_76
; %bb.75:                               ;   in Loop: Header=BB0_10 Depth=3
	v_add_co_u32 v3, vcc_lo, s34, v5
	s_wait_alu 0xfffd
	v_add_co_ci_u32_e64 v4, null, s35, v6, vcc_lo
	global_store_b8 v[3:4], v13, off
.LBB0_76:                               ;   in Loop: Header=BB0_10 Depth=3
	v_add_co_u32 v3, vcc_lo, s12, v5
	s_wait_alu 0xfffd
	v_add_co_ci_u32_e64 v4, null, s13, v6, vcc_lo
	s_getpc_b64 s[88:89]
	s_wait_alu 0xfffe
	s_sext_i32_i16 s89, s89
	s_add_co_u32 s88, s88, _ZL3C_p@gotpcrel32@lo+12
	s_wait_alu 0xfffe
	s_add_co_ci_u32 s89, s89, _ZL3C_p@gotpcrel32@hi+24
	s_mov_b32 s4, exec_lo
	s_load_b64 s[88:89], s[88:89], 0x0
	global_load_u8 v22, v[3:4], off
	s_wait_loadcnt 0x0
	v_bfe_i32 v23, v22, 0, 8
	s_delay_alu instid0(VALU_DEP_1) | instskip(SKIP_3) | instid1(VALU_DEP_2)
	v_ashrrev_i32_e32 v24, 31, v23
	s_wait_kmcnt 0x0
	v_add_co_u32 v23, vcc_lo, s88, v23
	s_wait_alu 0xfffd
	v_add_co_ci_u32_e64 v24, null, s89, v24, vcc_lo
	s_add_nc_u64 s[88:89], s[88:89], s[30:31]
	s_clause 0x1
	global_load_i8 v23, v[23:24], off
	global_load_i8 v24, v8, s[88:89]
	s_wait_loadcnt 0x0
	v_cmpx_ge_i16_e64 v23, v24
	s_xor_b32 s16, exec_lo, s4
	s_cbranch_execz .LBB0_85
; %bb.77:                               ;   in Loop: Header=BB0_10 Depth=3
	v_and_b32_e32 v5, 0xff, v22
	s_and_not1_b32 vcc_lo, exec_lo, s63
	s_delay_alu instid0(VALU_DEP_1)
	v_cmp_ne_u16_e64 s4, 4, v5
	s_wait_alu 0xfffe
	s_cbranch_vccnz .LBB0_80
; %bb.78:                               ;   in Loop: Header=BB0_10 Depth=3
	v_add_nc_u16 v6, v22, -9
	s_delay_alu instid0(VALU_DEP_1) | instskip(NEXT) | instid1(VALU_DEP_1)
	v_and_b32_e32 v6, 0xff, v6
	v_cmp_lt_u16_e32 vcc_lo, 0xfd, v6
	s_or_b32 s47, s78, vcc_lo
	s_wait_alu 0xfffe
	s_and_b32 s4, s4, s47
	s_wait_alu 0xfffe
	s_and_b32 s4, s4, exec_lo
	s_cbranch_execz .LBB0_81
	s_branch .LBB0_82
.LBB0_79:                               ;   in Loop: Header=BB0_10 Depth=3
	s_branch .LBB0_90
.LBB0_80:                               ;   in Loop: Header=BB0_10 Depth=3
	s_mov_b32 s4, 0
.LBB0_81:                               ;   in Loop: Header=BB0_10 Depth=3
	v_cmp_ne_u16_e32 vcc_lo, 4, v5
	s_wait_alu 0xfffe
	s_and_not1_b32 s4, s4, exec_lo
	s_and_b32 s47, vcc_lo, exec_lo
	s_wait_alu 0xfffe
	s_or_b32 s4, s4, s47
.LBB0_82:                               ;   in Loop: Header=BB0_10 Depth=3
	s_wait_alu 0xfffe
	s_and_saveexec_b32 s47, s4
	s_cbranch_execz .LBB0_84
; %bb.83:                               ;   in Loop: Header=BB0_10 Depth=3
	global_store_b8 v[3:4], v9, off
.LBB0_84:                               ;   in Loop: Header=BB0_10 Depth=3
	s_wait_alu 0xfffe
	s_or_b32 exec_lo, exec_lo, s47
                                        ; implicit-def: $vgpr3_vgpr4
                                        ; implicit-def: $vgpr5_vgpr6
.LBB0_85:                               ;   in Loop: Header=BB0_10 Depth=3
	s_and_not1_saveexec_b32 s4, s16
	s_cbranch_execz .LBB0_88
; %bb.86:                               ;   in Loop: Header=BB0_10 Depth=3
	v_mov_b32_e32 v22, s27
	s_and_not1_b32 vcc_lo, exec_lo, s64
	global_store_b8 v[3:4], v22, off
	s_wait_alu 0xfffe
	s_cbranch_vccnz .LBB0_88
; %bb.87:                               ;   in Loop: Header=BB0_10 Depth=3
	v_lshlrev_b64_e32 v[3:4], 2, v[5:6]
	s_delay_alu instid0(VALU_DEP_1) | instskip(SKIP_1) | instid1(VALU_DEP_2)
	v_add_co_u32 v3, vcc_lo, s14, v3
	s_wait_alu 0xfffd
	v_add_co_ci_u32_e64 v4, null, s15, v4, vcc_lo
	global_store_b32 v[3:4], v10, off
.LBB0_88:                               ;   in Loop: Header=BB0_10 Depth=3
	s_wait_alu 0xfffe
	s_or_b32 exec_lo, exec_lo, s4
.LBB0_89:                               ;   in Loop: Header=BB0_10 Depth=3
	s_cbranch_execnz .LBB0_9
.LBB0_90:                               ;   in Loop: Header=BB0_10 Depth=3
	v_max_i32_e32 v3, v20, v21
	s_delay_alu instid0(VALU_DEP_1) | instskip(NEXT) | instid1(VALU_DEP_1)
	v_mul_hi_u32 v4, v3, s42
	v_mul_lo_u32 v4, v4, s68
	s_delay_alu instid0(VALU_DEP_1) | instskip(NEXT) | instid1(VALU_DEP_1)
	v_sub_nc_u32_e32 v3, v3, v4
	v_subrev_nc_u32_e32 v4, s68, v3
	v_cmp_le_u32_e32 vcc_lo, s68, v3
	s_wait_alu 0xfffd
	s_delay_alu instid0(VALU_DEP_2) | instskip(NEXT) | instid1(VALU_DEP_1)
	v_cndmask_b32_e32 v3, v3, v4, vcc_lo
	v_subrev_nc_u32_e32 v4, s68, v3
	v_cmp_le_u32_e32 vcc_lo, s68, v3
	s_wait_alu 0xfffd
	s_delay_alu instid0(VALU_DEP_2) | instskip(SKIP_1) | instid1(VALU_DEP_1)
	v_cndmask_b32_e32 v3, v3, v4, vcc_lo
	s_and_not1_b32 vcc_lo, exec_lo, s65
	v_xor_b32_e32 v3, v3, v19
	s_delay_alu instid0(VALU_DEP_1) | instskip(NEXT) | instid1(VALU_DEP_1)
	v_sub_nc_u32_e32 v3, v3, v19
	v_add_nc_u32_e32 v5, v17, v3
	s_delay_alu instid0(VALU_DEP_1)
	v_ashrrev_i32_e32 v6, 31, v5
	s_wait_alu 0xfffe
	s_cbranch_vccnz .LBB0_92
; %bb.91:                               ;   in Loop: Header=BB0_10 Depth=3
	v_add_co_u32 v3, vcc_lo, s34, v5
	s_wait_alu 0xfffd
	v_add_co_ci_u32_e64 v4, null, s35, v6, vcc_lo
	global_store_b8 v[3:4], v10, off
.LBB0_92:                               ;   in Loop: Header=BB0_10 Depth=3
	v_add_co_u32 v3, vcc_lo, s12, v5
	s_wait_alu 0xfffd
	v_add_co_ci_u32_e64 v4, null, s13, v6, vcc_lo
	s_getpc_b64 s[88:89]
	s_wait_alu 0xfffe
	s_sext_i32_i16 s89, s89
	s_add_co_u32 s88, s88, _ZL3C_p@gotpcrel32@lo+12
	s_wait_alu 0xfffe
	s_add_co_ci_u32 s89, s89, _ZL3C_p@gotpcrel32@hi+24
	s_mov_b32 s4, exec_lo
	s_load_b64 s[88:89], s[88:89], 0x0
	global_load_u8 v19, v[3:4], off
	s_wait_loadcnt 0x0
	v_bfe_i32 v20, v19, 0, 8
	s_delay_alu instid0(VALU_DEP_1) | instskip(SKIP_3) | instid1(VALU_DEP_2)
	v_ashrrev_i32_e32 v21, 31, v20
	s_wait_kmcnt 0x0
	v_add_co_u32 v20, vcc_lo, s88, v20
	s_wait_alu 0xfffd
	v_add_co_ci_u32_e64 v21, null, s89, v21, vcc_lo
	s_add_nc_u64 s[88:89], s[88:89], s[40:41]
	s_clause 0x1
	global_load_i8 v20, v[20:21], off
	global_load_i8 v21, v8, s[88:89]
	s_wait_loadcnt 0x0
	v_cmpx_ge_i16_e64 v20, v21
	s_xor_b32 s16, exec_lo, s4
	s_cbranch_execz .LBB0_100
; %bb.93:                               ;   in Loop: Header=BB0_10 Depth=3
	v_and_b32_e32 v5, 0xff, v19
	s_and_not1_b32 vcc_lo, exec_lo, s66
	s_delay_alu instid0(VALU_DEP_1)
	v_cmp_ne_u16_e64 s4, 4, v5
	s_wait_alu 0xfffe
	s_cbranch_vccnz .LBB0_95
; %bb.94:                               ;   in Loop: Header=BB0_10 Depth=3
	v_add_nc_u16 v6, v19, -9
	s_delay_alu instid0(VALU_DEP_1) | instskip(NEXT) | instid1(VALU_DEP_1)
	v_and_b32_e32 v6, 0xff, v6
	v_cmp_lt_u16_e32 vcc_lo, 0xfd, v6
	s_or_b32 s47, s9, vcc_lo
	s_wait_alu 0xfffe
	s_and_b32 s4, s4, s47
	s_wait_alu 0xfffe
	s_and_b32 s4, s4, exec_lo
	s_cbranch_execz .LBB0_96
	s_branch .LBB0_97
.LBB0_95:                               ;   in Loop: Header=BB0_10 Depth=3
	s_mov_b32 s4, 0
.LBB0_96:                               ;   in Loop: Header=BB0_10 Depth=3
	v_cmp_ne_u16_e32 vcc_lo, 4, v5
	s_wait_alu 0xfffe
	s_and_not1_b32 s4, s4, exec_lo
	s_and_b32 s47, vcc_lo, exec_lo
	s_wait_alu 0xfffe
	s_or_b32 s4, s4, s47
.LBB0_97:                               ;   in Loop: Header=BB0_10 Depth=3
	s_wait_alu 0xfffe
	s_and_saveexec_b32 s47, s4
	s_cbranch_execz .LBB0_99
; %bb.98:                               ;   in Loop: Header=BB0_10 Depth=3
	global_store_b8 v[3:4], v9, off
.LBB0_99:                               ;   in Loop: Header=BB0_10 Depth=3
	s_wait_alu 0xfffe
	s_or_b32 exec_lo, exec_lo, s47
                                        ; implicit-def: $vgpr3_vgpr4
                                        ; implicit-def: $vgpr5_vgpr6
.LBB0_100:                              ;   in Loop: Header=BB0_10 Depth=3
	s_and_not1_saveexec_b32 s4, s16
	s_cbranch_execz .LBB0_8
; %bb.101:                              ;   in Loop: Header=BB0_10 Depth=3
	v_mov_b32_e32 v19, s26
	s_and_not1_b32 vcc_lo, exec_lo, s67
	global_store_b8 v[3:4], v19, off
	s_wait_alu 0xfffe
	s_cbranch_vccnz .LBB0_8
; %bb.102:                              ;   in Loop: Header=BB0_10 Depth=3
	v_lshlrev_b64_e32 v[3:4], 2, v[5:6]
	s_delay_alu instid0(VALU_DEP_1) | instskip(SKIP_1) | instid1(VALU_DEP_2)
	v_add_co_u32 v3, vcc_lo, s14, v3
	s_wait_alu 0xfffd
	v_add_co_ci_u32_e64 v4, null, s15, v4, vcc_lo
	global_store_b32 v[3:4], v10, off
	s_branch .LBB0_8
.LBB0_103:
	s_endpgm
	.section	.rodata,"a",@progbits
	.p2align	6, 0x0
	.amdhsa_kernel _Z9make_flagPcPiS_5BoxCU10outer_walliiii
		.amdhsa_group_segment_fixed_size 0
		.amdhsa_private_segment_fixed_size 0
		.amdhsa_kernarg_size 344
		.amdhsa_user_sgpr_count 2
		.amdhsa_user_sgpr_dispatch_ptr 0
		.amdhsa_user_sgpr_queue_ptr 0
		.amdhsa_user_sgpr_kernarg_segment_ptr 1
		.amdhsa_user_sgpr_dispatch_id 0
		.amdhsa_user_sgpr_private_segment_size 0
		.amdhsa_wavefront_size32 1
		.amdhsa_uses_dynamic_stack 0
		.amdhsa_enable_private_segment 0
		.amdhsa_system_sgpr_workgroup_id_x 1
		.amdhsa_system_sgpr_workgroup_id_y 1
		.amdhsa_system_sgpr_workgroup_id_z 1
		.amdhsa_system_sgpr_workgroup_info 0
		.amdhsa_system_vgpr_workitem_id 1
		.amdhsa_next_free_vgpr 25
		.amdhsa_next_free_sgpr 90
		.amdhsa_reserve_vcc 1
		.amdhsa_float_round_mode_32 0
		.amdhsa_float_round_mode_16_64 0
		.amdhsa_float_denorm_mode_32 3
		.amdhsa_float_denorm_mode_16_64 3
		.amdhsa_fp16_overflow 0
		.amdhsa_workgroup_processor_mode 1
		.amdhsa_memory_ordered 1
		.amdhsa_forward_progress 1
		.amdhsa_inst_pref_size 36
		.amdhsa_round_robin_scheduling 0
		.amdhsa_exception_fp_ieee_invalid_op 0
		.amdhsa_exception_fp_denorm_src 0
		.amdhsa_exception_fp_ieee_div_zero 0
		.amdhsa_exception_fp_ieee_overflow 0
		.amdhsa_exception_fp_ieee_underflow 0
		.amdhsa_exception_fp_ieee_inexact 0
		.amdhsa_exception_int_div_zero 0
	.end_amdhsa_kernel
	.text
.Lfunc_end0:
	.size	_Z9make_flagPcPiS_5BoxCU10outer_walliiii, .Lfunc_end0-_Z9make_flagPcPiS_5BoxCU10outer_walliiii
                                        ; -- End function
	.set _Z9make_flagPcPiS_5BoxCU10outer_walliiii.num_vgpr, 25
	.set _Z9make_flagPcPiS_5BoxCU10outer_walliiii.num_agpr, 0
	.set _Z9make_flagPcPiS_5BoxCU10outer_walliiii.numbered_sgpr, 90
	.set _Z9make_flagPcPiS_5BoxCU10outer_walliiii.num_named_barrier, 0
	.set _Z9make_flagPcPiS_5BoxCU10outer_walliiii.private_seg_size, 0
	.set _Z9make_flagPcPiS_5BoxCU10outer_walliiii.uses_vcc, 1
	.set _Z9make_flagPcPiS_5BoxCU10outer_walliiii.uses_flat_scratch, 0
	.set _Z9make_flagPcPiS_5BoxCU10outer_walliiii.has_dyn_sized_stack, 0
	.set _Z9make_flagPcPiS_5BoxCU10outer_walliiii.has_recursion, 0
	.set _Z9make_flagPcPiS_5BoxCU10outer_walliiii.has_indirect_call, 0
	.section	.AMDGPU.csdata,"",@progbits
; Kernel info:
; codeLenInByte = 4552
; TotalNumSgprs: 92
; NumVgprs: 25
; ScratchSize: 0
; MemoryBound: 0
; FloatMode: 240
; IeeeMode: 1
; LDSByteSize: 0 bytes/workgroup (compile time only)
; SGPRBlocks: 0
; VGPRBlocks: 3
; NumSGPRsForWavesPerEU: 92
; NumVGPRsForWavesPerEU: 25
; Occupancy: 16
; WaveLimiterHint : 0
; COMPUTE_PGM_RSRC2:SCRATCH_EN: 0
; COMPUTE_PGM_RSRC2:USER_SGPR: 2
; COMPUTE_PGM_RSRC2:TRAP_HANDLER: 0
; COMPUTE_PGM_RSRC2:TGID_X_EN: 1
; COMPUTE_PGM_RSRC2:TGID_Y_EN: 1
; COMPUTE_PGM_RSRC2:TGID_Z_EN: 1
; COMPUTE_PGM_RSRC2:TIDIG_COMP_CNT: 1
	.section	.text._Z9find_wallILi19EEvPcS0_Pi5BoxCUi,"axG",@progbits,_Z9find_wallILi19EEvPcS0_Pi5BoxCUi,comdat
	.protected	_Z9find_wallILi19EEvPcS0_Pi5BoxCUi ; -- Begin function _Z9find_wallILi19EEvPcS0_Pi5BoxCUi
	.globl	_Z9find_wallILi19EEvPcS0_Pi5BoxCUi
	.p2align	8
	.type	_Z9find_wallILi19EEvPcS0_Pi5BoxCUi,@function
_Z9find_wallILi19EEvPcS0_Pi5BoxCUi:     ; @_Z9find_wallILi19EEvPcS0_Pi5BoxCUi
; %bb.0:
	s_load_b32 s16, s[0:1], 0x2c
	s_lshr_b32 s17, ttmp7, 16
	s_wait_kmcnt 0x0
	s_cmp_ge_i32 s17, s16
	s_cbranch_scc1 .LBB1_118
; %bb.1:
	v_dual_mov_b32 v1, 0 :: v_dual_mov_b32 v14, 0
	s_getpc_b64 s[2:3]
	s_sext_i32_i16 s3, s3
	s_add_co_u32 s2, s2, C_dirs@rel32@lo+11
	s_add_co_ci_u32 s3, s3, C_dirs@rel32@hi+19
	s_getpc_b64 s[4:5]
	s_sext_i32_i16 s5, s5
	s_add_co_u32 s4, s4, C_dirs@rel32@lo+39
	s_add_co_ci_u32 s5, s5, C_dirs@rel32@hi+47
	;; [unrolled: 4-line block ×3, first 2 shown]
	s_clause 0x1
	global_load_b128 v[3:6], v1, s[2:3]
	global_load_b64 v[7:8], v1, s[6:7]
	s_getpc_b64 s[2:3]
	s_sext_i32_i16 s3, s3
	s_add_co_u32 s2, s2, C_dirs@rel32@lo+35
	s_add_co_ci_u32 s3, s3, C_dirs@rel32@hi+43
	s_getpc_b64 s[8:9]
	s_sext_i32_i16 s9, s9
	s_add_co_u32 s8, s8, C_dirs@rel32@lo+54
	s_add_co_ci_u32 s9, s9, C_dirs@rel32@hi+62
	;; [unrolled: 4-line block ×3, first 2 shown]
	v_dual_mov_b32 v16, 0 :: v_dual_mov_b32 v11, 3
	global_load_b32 v15, v1, s[2:3]
	s_getpc_b64 s[2:3]
	s_sext_i32_i16 s3, s3
	s_add_co_u32 s2, s2, C_dirs@rel32@lo+50
	s_add_co_ci_u32 s3, s3, C_dirs@rel32@hi+58
	s_clause 0x1
	global_load_d16_b16 v14, v14, s[4:5]
	global_load_b64 v[9:10], v1, s[6:7]
	s_getpc_b64 s[4:5]
	s_sext_i32_i16 s5, s5
	s_add_co_u32 s4, s4, C_dirs@rel32@lo+57
	s_add_co_ci_u32 s5, s5, C_dirs@rel32@hi+65
	s_clause 0x2
	global_load_b32 v17, v1, s[2:3]
	global_load_d16_b16 v16, v16, s[8:9]
	global_load_b64 v[12:13], v1, s[4:5]
	s_add_nc_u64 s[2:3], s[0:1], 24
	s_clause 0x1
	s_load_b32 s18, s[2:3], 0xc
	s_load_b32 s19, s[2:3], 0x4
	s_getpc_b64 s[14:15]
	s_sext_i32_i16 s15, s15
	s_add_co_u32 s14, s14, C_dirs@rel32@lo+41
	s_add_co_ci_u32 s15, s15, C_dirs@rel32@hi+49
	s_abs_i32 s20, s16
	s_and_b32 s23, ttmp7, 0xffff
	s_cvt_f32_u32 s13, s20
	s_clause 0x1
	s_load_b128 s[4:7], s[0:1], 0x0
	s_load_b64 s[2:3], s[0:1], 0x10
	s_add_nc_u64 s[8:9], s[0:1], 56
	s_clause 0x1
	s_load_b64 s[10:11], s[0:1], 0x3c
	s_load_u16 s12, s[0:1], 0x46
	v_rcp_iflag_f32_e32 v2, s13
	s_getpc_b64 s[0:1]
	s_sext_i32_i16 s1, s1
	s_add_co_u32 s0, s0, C_dirs@rel32@lo+56
	s_add_co_ci_u32 s1, s1, C_dirs@rel32@hi+64
	s_clause 0x1
	s_load_i8 s14, s[14:15], 0x0
	s_load_i8 s0, s[0:1], 0x0
	v_bfe_u32 v1, v0, 10, 10
	v_and_b32_e32 v0, 0x3ff, v0
	s_mov_b32 s13, 0
	v_readfirstlane_b32 s24, v2
	s_wait_kmcnt 0x0
	s_abs_i32 s21, s18
	s_abs_i32 s22, s19
	s_cvt_f32_u32 s1, s21
	s_cvt_f32_u32 s15, s22
	s_mul_f32 s24, s24, 0x4f7ffffe
	s_sub_co_i32 s27, 0, s22
	v_rcp_iflag_f32_e32 v18, s1
	v_rcp_iflag_f32_e32 v19, s15
	s_cvt_u32_f32 s25, s24
	v_mad_co_u64_u32 v[1:2], null, s23, s12, v[1:2]
	s_sub_co_i32 s1, 0, s20
	s_add_co_i32 s23, s19, s0
	s_mul_i32 s10, s10, s12
	s_sub_co_i32 s12, 0, s21
	s_wait_alu 0xfffe
	s_mul_i32 s1, s1, s25
	v_readfirstlane_b32 s24, v18
	v_readfirstlane_b32 s26, v19
	s_wait_alu 0xfffe
	s_mul_hi_u32 s1, s25, s1
	s_mov_b32 s15, s13
	v_cmp_gt_i32_e32 vcc_lo, s18, v1
	s_mul_f32 s0, s24, 0x4f7ffffe
	s_mul_f32 s26, s26, 0x4f7ffffe
	s_add_co_i32 s24, s19, s14
	s_wait_alu 0xfffe
	s_add_co_i32 s14, s25, s1
	s_cvt_u32_f32 s0, s0
	s_cvt_u32_f32 s26, s26
	s_wait_alu 0xfffe
	s_delay_alu instid0(SALU_CYCLE_1) | instskip(NEXT) | instid1(SALU_CYCLE_1)
	s_mul_i32 s12, s12, s0
	s_mul_i32 s27, s27, s26
	s_wait_alu 0xfffe
	s_mul_hi_u32 s1, s0, s12
	s_mul_hi_u32 s12, s26, s27
	s_wait_alu 0xfffe
	s_add_co_i32 s25, s0, s1
	s_add_co_i32 s26, s26, s12
	s_wait_loadcnt 0x7
	v_readfirstlane_b32 s0, v3
	v_readfirstlane_b32 s1, v4
	;; [unrolled: 1-line block ×4, first 2 shown]
	s_wait_loadcnt 0x6
	v_readfirstlane_b32 s43, v8
	v_readfirstlane_b32 s40, v7
	s_sext_i32_i8 s75, s0
	s_wait_loadcnt 0x5
	v_bfe_i32 v2, v15, 0, 8
	v_ashrrev_i32_e32 v3, 24, v15
	s_wait_loadcnt 0x3
	v_readfirstlane_b32 s53, v10
	s_wait_loadcnt 0x2
	v_bfe_i32 v4, v17, 0, 8
	v_ashrrev_i32_e32 v5, 24, v17
	v_readfirstlane_b32 s50, v9
	s_wait_loadcnt 0x0
	v_readfirstlane_b32 s60, v12
	v_readfirstlane_b32 s63, v13
	;; [unrolled: 1-line block ×6, first 2 shown]
	v_add_nc_u32_e32 v12, s19, v5
	v_add_nc_u32_e32 v13, s19, v4
	;; [unrolled: 1-line block ×4, first 2 shown]
	s_bfe_i32 s27, s0, 0x80010
	s_bfe_i32 s28, s0, 0x80008
	s_ashr_i32 s0, s0, 24
	s_bfe_i32 s29, s1, 0x80008
	s_sext_i32_i8 s30, s1
	s_bfe_i32 s73, s1, 0x80010
	s_ashr_i32 s31, s1, 24
	s_sext_i32_i8 s33, s12
	s_bfe_i32 s1, s12, 0x80008
	s_ashr_i32 s34, s12, 24
	s_bfe_i32 s35, s12, 0x80010
	s_sext_i32_i8 s12, s38
	s_ashr_i32 s70, s38, 24
	s_bfe_i32 s69, s40, 0x80010
	s_bfe_i32 s68, s43, 0x80008
	s_bfe_i32 s67, s50, 0x80010
	s_bfe_i32 s66, s53, 0x80008
	s_bfe_i32 s65, s60, 0x80010
	s_bfe_i32 s64, s63, 0x80008
	s_bfe_i32 s36, s38, 0x80010
	s_bfe_i32 s37, s38, 0x80008
	s_bfe_i32 s38, s40, 0x80008
	s_sext_i32_i8 s39, s40
	s_ashr_i32 s40, s40, 24
	s_sext_i32_i8 s41, s43
	s_ashr_i32 s42, s43, 24
	s_bfe_i32 s43, s43, 0x80010
	s_bfe_i32 s44, s45, 0x80010
	;; [unrolled: 1-line block ×4, first 2 shown]
	s_sext_i32_i8 s47, s47
	s_bfe_i32 s48, s50, 0x80008
	s_sext_i32_i8 s49, s50
	s_ashr_i32 s50, s50, 24
	s_sext_i32_i8 s51, s53
	s_ashr_i32 s52, s53, 24
	s_bfe_i32 s53, s53, 0x80010
	s_bfe_i32 s54, s55, 0x80010
	;; [unrolled: 1-line block ×4, first 2 shown]
	s_sext_i32_i8 s57, s57
	s_bfe_i32 s58, s60, 0x80008
	s_sext_i32_i8 s59, s60
	s_ashr_i32 s60, s60, 24
	s_sext_i32_i8 s61, s63
	s_ashr_i32 s62, s63, 24
	s_bfe_i32 s63, s63, 0x80010
	s_add_co_i32 s64, s19, s64
	s_add_co_i32 s65, s19, s65
	;; [unrolled: 1-line block ×7, first 2 shown]
	s_wait_alu 0xfffe
	s_add_co_i32 s71, s19, s12
	s_add_co_i32 s72, s19, s1
	;; [unrolled: 1-line block ×5, first 2 shown]
	s_branch .LBB1_3
.LBB1_2:                                ;   in Loop: Header=BB1_3 Depth=1
	s_or_b32 exec_lo, exec_lo, s76
	s_add_co_i32 s17, s11, s17
	s_delay_alu instid0(SALU_CYCLE_1)
	s_cmp_ge_i32 s17, s16
	s_cbranch_scc1 .LBB1_118
.LBB1_3:                                ; =>This Loop Header: Depth=1
                                        ;     Child Loop BB1_6 Depth 2
                                        ;       Child Loop BB1_10 Depth 3
	s_and_saveexec_b32 s76, vcc_lo
	s_cbranch_execz .LBB1_2
; %bb.4:                                ;   in Loop: Header=BB1_3 Depth=1
	s_clause 0x1
	s_load_b32 s78, s[8:9], 0xc
	s_load_b32 s79, s[8:9], 0x0
	s_add_co_i32 s77, s17, s16
	v_mov_b32_e32 v16, v1
	s_abs_i32 s12, s77
	s_mov_b32 s80, 0
	s_wait_alu 0xfffe
	s_mul_u64 s[0:1], s[12:13], s[14:15]
	s_wait_alu 0xfffe
	s_mul_i32 s0, s1, s20
	s_ashr_i32 s1, s77, 31
	s_wait_alu 0xfffe
	s_sub_co_i32 s0, s12, s0
	s_wait_alu 0xfffe
	s_sub_co_i32 s12, s0, s20
	s_wait_kmcnt 0x0
	s_and_b32 s78, s78, 0xffff
	s_cmp_ge_u32 s0, s20
	s_wait_alu 0xfffe
	v_mad_co_u64_u32 v[2:3], null, ttmp9, s78, v[0:1]
	s_cselect_b32 s0, s12, s0
	s_mul_i32 s78, s79, s78
	s_wait_alu 0xfffe
	s_sub_co_i32 s12, s0, s20
	s_cmp_ge_u32 s0, s20
	s_wait_alu 0xfffe
	s_cselect_b32 s0, s12, s0
	s_wait_alu 0xfffe
	s_xor_b32 s12, s0, s1
	v_cmp_gt_i32_e64 s0, s19, v2
	s_wait_alu 0xfffe
	s_sub_co_i32 s1, s12, s1
	s_wait_alu 0xfffe
	s_mul_i32 s79, s1, s18
	s_branch .LBB1_6
.LBB1_5:                                ;   in Loop: Header=BB1_6 Depth=2
	s_or_b32 exec_lo, exec_lo, s81
	v_add_nc_u32_e32 v16, s10, v16
	s_delay_alu instid0(VALU_DEP_1) | instskip(SKIP_1) | instid1(SALU_CYCLE_1)
	v_cmp_le_i32_e64 s1, s18, v16
	s_or_b32 s80, s1, s80
	s_and_not1_b32 exec_lo, exec_lo, s80
	s_cbranch_execz .LBB1_2
.LBB1_6:                                ;   Parent Loop BB1_3 Depth=1
                                        ; =>  This Loop Header: Depth=2
                                        ;       Child Loop BB1_10 Depth 3
	s_and_saveexec_b32 s81, s0
	s_cbranch_execz .LBB1_5
; %bb.7:                                ;   in Loop: Header=BB1_6 Depth=2
	v_dual_mov_b32 v36, v2 :: v_dual_add_nc_u32 v3, s18, v16
	s_add_co_i32 s100, s77, s27
	s_add_co_i32 s101, s77, s29
	s_wait_alu 0xfffe
	s_abs_i32 s12, s100
	v_sub_nc_u32_e32 v4, 0, v3
	v_add_nc_u32_e32 v17, s28, v3
	v_add_nc_u32_e32 v20, s30, v3
	v_ashrrev_i32_e32 v18, 31, v3
	s_wait_alu 0xfffe
	s_mul_u64 s[98:99], s[12:13], s[14:15]
	v_max_i32_e32 v4, v3, v4
	v_sub_nc_u32_e32 v6, 0, v17
	s_add_co_i32 s97, s77, s33
	s_add_co_i32 s96, s77, s34
	;; [unrolled: 1-line block ×3, first 2 shown]
	v_mul_hi_u32 v5, v4, s25
	v_max_i32_e32 v6, v17, v6
	s_add_co_i32 s94, s77, s38
	s_add_co_i32 s93, s77, s41
	;; [unrolled: 1-line block ×4, first 2 shown]
	v_mul_hi_u32 v7, v6, s25
	s_add_co_i32 s90, s77, s46
	v_mul_lo_u32 v5, v5, s21
	s_add_co_i32 s89, s77, s48
	s_add_co_i32 s88, s77, s51
	;; [unrolled: 1-line block ×7, first 2 shown]
	v_sub_nc_u32_e32 v4, v4, v5
	v_mul_lo_u32 v5, v7, s21
	s_add_co_i32 s82, s77, s62
	v_add_nc_u32_e32 v21, s31, v3
	v_add_nc_u32_e32 v22, s35, v3
	v_subrev_nc_u32_e32 v7, s21, v4
	v_cmp_le_u32_e64 s1, s21, v4
	v_add_nc_u32_e32 v23, s37, v3
	v_add_nc_u32_e32 v24, s39, v3
	v_sub_nc_u32_e32 v5, v6, v5
	v_add_nc_u32_e32 v28, s40, v3
	s_wait_alu 0xf1ff
	v_cndmask_b32_e64 v4, v4, v7, s1
	v_sub_nc_u32_e32 v7, 0, v20
	v_add_nc_u32_e32 v27, s43, v3
	v_subrev_nc_u32_e32 v19, s21, v5
	v_add_nc_u32_e32 v26, s45, v3
	v_subrev_nc_u32_e32 v6, s21, v4
	v_cmp_le_u32_e64 s1, s21, v4
	v_max_i32_e32 v29, v20, v7
	v_add_nc_u32_e32 v25, s47, v3
	v_add_nc_u32_e32 v10, s49, v3
	;; [unrolled: 1-line block ×3, first 2 shown]
	s_wait_alu 0xf1ff
	v_cndmask_b32_e64 v4, v4, v6, s1
	v_cmp_le_u32_e64 s1, s21, v5
	v_mul_hi_u32 v30, v29, s25
	v_add_nc_u32_e32 v8, s53, v3
	v_add_nc_u32_e32 v7, s55, v3
	v_xor_b32_e32 v4, v4, v18
	s_wait_alu 0xf1ff
	v_cndmask_b32_e64 v19, v5, v19, s1
	v_add_nc_u32_e32 v6, s57, v3
	v_add_nc_u32_e32 v5, s59, v3
	v_sub_nc_u32_e32 v4, v4, v18
	s_delay_alu instid0(VALU_DEP_4) | instskip(SKIP_4) | instid1(VALU_DEP_3)
	v_subrev_nc_u32_e32 v31, s21, v19
	v_cmp_le_u32_e64 s1, s21, v19
	v_mul_lo_u32 v30, v30, s21
	v_ashrrev_i32_e32 v18, 31, v17
	s_wait_alu 0xf1ff
	v_cndmask_b32_e64 v17, v19, v31, s1
	s_mul_i32 s1, s99, s20
	v_add_nc_u32_e32 v19, s79, v4
	s_wait_alu 0xfffe
	s_sub_co_i32 s1, s12, s1
	s_ashr_i32 s12, s100, 31
	s_wait_alu 0xfffe
	s_sub_co_i32 s98, s1, s20
	s_cmp_ge_u32 s1, s20
	v_xor_b32_e32 v31, v17, v18
	v_mul_lo_u32 v17, v19, s19
	v_sub_nc_u32_e32 v19, v29, v30
	s_cselect_b32 s1, s98, s1
	v_sub_nc_u32_e32 v30, 0, v21
	s_wait_alu 0xfffe
	s_sub_co_i32 s98, s1, s20
	s_cmp_ge_u32 s1, s20
	v_subrev_nc_u32_e32 v29, s21, v19
	s_cselect_b32 s98, s98, s1
	v_cmp_le_u32_e64 s1, s21, v19
	v_max_i32_e32 v30, v21, v30
	v_sub_nc_u32_e32 v18, v31, v18
	v_ashrrev_i32_e32 v21, 31, v21
	v_add_nc_u32_e32 v4, s60, v3
	s_wait_alu 0xf1ff
	v_cndmask_b32_e64 v29, v19, v29, s1
	s_xor_b32 s1, s98, s12
	v_mul_hi_u32 v32, v30, s25
	s_wait_alu 0xfffe
	s_sub_co_i32 s1, s1, s12
	s_abs_i32 s12, s101
	v_subrev_nc_u32_e32 v31, s21, v29
	s_wait_alu 0xfffe
	v_mad_co_u64_u32 v[18:19], null, s1, s18, v[18:19]
	v_cmp_le_u32_e64 s1, s21, v29
	s_mul_u64 s[98:99], s[12:13], s[14:15]
	v_ashrrev_i32_e32 v19, 31, v20
	s_ashr_i32 s98, s101, 31
	v_add_nc_u32_e32 v3, s63, v3
	v_cndmask_b32_e64 v20, v29, v31, s1
	v_mul_lo_u32 v29, v32, s21
	s_mul_i32 s1, s99, s20
	v_mul_lo_u32 v18, v18, s19
	s_wait_alu 0xfffe
	s_sub_co_i32 s1, s12, s1
	v_xor_b32_e32 v20, v20, v19
	s_wait_alu 0xfffe
	s_sub_co_i32 s12, s1, s20
	s_cmp_ge_u32 s1, s20
	s_wait_alu 0xfffe
	s_cselect_b32 s1, s12, s1
	v_sub_nc_u32_e32 v29, v30, v29
	v_sub_nc_u32_e32 v30, 0, v22
	s_wait_alu 0xfffe
	s_sub_co_i32 s12, s1, s20
	s_cmp_ge_u32 s1, s20
	v_sub_nc_u32_e32 v19, v20, v19
	s_wait_alu 0xfffe
	s_cselect_b32 s1, s12, s1
	v_max_i32_e32 v30, v22, v30
	s_wait_alu 0xfffe
	s_xor_b32 s1, s1, s98
	v_subrev_nc_u32_e32 v20, s21, v29
	s_wait_alu 0xfffe
	s_sub_co_i32 s100, s1, s98
	v_cmp_le_u32_e64 s1, s21, v29
	s_abs_i32 s12, s97
	v_mul_hi_u32 v31, v30, s25
	s_wait_alu 0xfffe
	s_mul_u64 s[98:99], s[12:13], s[14:15]
	s_ashr_i32 s97, s97, 31
	v_cndmask_b32_e64 v29, v29, v20, s1
	s_mul_i32 s1, s99, s20
	v_mad_co_u64_u32 v[19:20], null, s100, s18, v[19:20]
	s_wait_alu 0xfffe
	s_sub_co_i32 s1, s12, s1
	v_mul_lo_u32 v31, v31, s21
	s_wait_alu 0xfffe
	s_sub_co_i32 s12, s1, s20
	s_cmp_ge_u32 s1, s20
	v_subrev_nc_u32_e32 v20, s21, v29
	s_wait_alu 0xfffe
	s_cselect_b32 s12, s12, s1
	v_cmp_le_u32_e64 s1, s21, v29
	v_ashrrev_i32_e32 v22, 31, v22
	v_mul_lo_u32 v19, v19, s19
	s_wait_alu 0xf1ff
	s_delay_alu instid0(VALU_DEP_3)
	v_cndmask_b32_e64 v20, v29, v20, s1
	s_wait_alu 0xfffe
	s_sub_co_i32 s1, s12, s20
	v_sub_nc_u32_e32 v29, v30, v31
	s_cmp_ge_u32 s12, s20
	v_sub_nc_u32_e32 v30, 0, v23
	s_wait_alu 0xfffe
	s_cselect_b32 s1, s1, s12
	s_abs_i32 s12, s96
	s_wait_alu 0xfffe
	s_xor_b32 s100, s1, s97
	v_subrev_nc_u32_e32 v31, s21, v29
	v_cmp_le_u32_e64 s1, s21, v29
	v_max_i32_e32 v30, v23, v30
	s_mul_u64 s[98:99], s[12:13], s[14:15]
	v_xor_b32_e32 v20, v20, v21
	s_wait_alu 0xfffe
	s_sub_co_i32 s97, s100, s97
	v_cndmask_b32_e64 v29, v29, v31, s1
	s_mul_i32 s1, s99, s20
	v_mul_hi_u32 v31, v30, s25
	s_wait_alu 0xfffe
	s_sub_co_i32 s12, s12, s1
	s_ashr_i32 s96, s96, 31
	v_subrev_nc_u32_e32 v32, s21, v29
	v_cmp_le_u32_e64 s1, s21, v29
	s_wait_alu 0xfffe
	s_sub_co_i32 s98, s12, s20
	s_cmp_ge_u32 s12, s20
	v_sub_nc_u32_e32 v20, v20, v21
	v_mul_lo_u32 v31, v31, s21
	v_cndmask_b32_e64 v29, v29, v32, s1
	s_cselect_b32 s1, s98, s12
	v_ashrrev_i32_e32 v23, 31, v23
	s_wait_alu 0xfffe
	s_sub_co_i32 s12, s1, s20
	s_cmp_ge_u32 s1, s20
	v_xor_b32_e32 v29, v29, v22
	s_wait_alu 0xfffe
	s_cselect_b32 s1, s12, s1
	v_mad_co_u64_u32 v[20:21], null, s97, s18, v[20:21]
	v_sub_nc_u32_e32 v30, v30, v31
	v_sub_nc_u32_e32 v21, v29, v22
	s_wait_alu 0xfffe
	s_xor_b32 s1, s1, s96
	v_sub_nc_u32_e32 v31, 0, v24
	s_wait_alu 0xfffe
	s_sub_co_i32 s1, s1, s96
	v_subrev_nc_u32_e32 v29, s21, v30
	s_wait_alu 0xfffe
	v_mad_co_u64_u32 v[21:22], null, s1, s18, v[21:22]
	v_cmp_le_u32_e64 s1, s21, v30
	s_abs_i32 s12, s95
	s_ashr_i32 s95, s95, 31
	s_wait_alu 0xfffe
	s_mul_u64 s[96:97], s[12:13], s[14:15]
	v_mul_lo_u32 v20, v20, s19
	v_cndmask_b32_e64 v22, v30, v29, s1
	v_max_i32_e32 v29, v24, v31
	v_ashrrev_i32_e32 v24, 31, v24
	v_mul_lo_u32 v21, v21, s19
	s_delay_alu instid0(VALU_DEP_4) | instskip(NEXT) | instid1(VALU_DEP_4)
	v_subrev_nc_u32_e32 v30, s21, v22
	v_mul_hi_u32 v31, v29, s25
	v_cmp_le_u32_e64 s1, s21, v22
	s_wait_alu 0xf1ff
	s_delay_alu instid0(VALU_DEP_1) | instskip(SKIP_2) | instid1(VALU_DEP_3)
	v_cndmask_b32_e64 v22, v22, v30, s1
	s_wait_alu 0xfffe
	s_mul_i32 s1, s97, s20
	v_mul_lo_u32 v30, v31, s21
	s_wait_alu 0xfffe
	s_sub_co_i32 s1, s12, s1
	v_sub_nc_u32_e32 v31, 0, v28
	s_wait_alu 0xfffe
	s_sub_co_i32 s12, s1, s20
	s_cmp_ge_u32 s1, s20
	v_xor_b32_e32 v22, v22, v23
	s_wait_alu 0xfffe
	s_cselect_b32 s1, s12, s1
	s_wait_alu 0xfffe
	s_sub_co_i32 s12, s1, s20
	s_cmp_ge_u32 s1, s20
	v_sub_nc_u32_e32 v29, v29, v30
	s_wait_alu 0xfffe
	s_cselect_b32 s1, s12, s1
	v_max_i32_e32 v30, v28, v31
	s_wait_alu 0xfffe
	s_xor_b32 s1, s1, s95
	v_sub_nc_u32_e32 v22, v22, v23
	v_subrev_nc_u32_e32 v23, s21, v29
	s_wait_alu 0xfffe
	s_sub_co_i32 s95, s1, s95
	v_cmp_le_u32_e64 s1, s21, v29
	s_abs_i32 s12, s94
	v_mul_hi_u32 v31, v30, s25
	s_wait_alu 0xfffe
	s_mul_u64 s[96:97], s[12:13], s[14:15]
	s_ashr_i32 s96, s94, 31
	v_cndmask_b32_e64 v29, v29, v23, s1
	s_wait_alu 0xfffe
	s_mul_i32 s1, s97, s20
	v_mad_co_u64_u32 v[22:23], null, s95, s18, v[22:23]
	s_wait_alu 0xfffe
	s_sub_co_i32 s1, s12, s1
	v_mul_lo_u32 v23, v31, s21
	s_wait_alu 0xfffe
	s_sub_co_i32 s12, s1, s20
	s_cmp_ge_u32 s1, s20
	v_subrev_nc_u32_e32 v31, s21, v29
	s_wait_alu 0xfffe
	s_cselect_b32 s12, s12, s1
	v_cmp_le_u32_e64 s1, s21, v29
	v_ashrrev_i32_e32 v28, 31, v28
	v_mul_lo_u32 v22, v22, s19
	v_sub_nc_u32_e32 v23, v30, v23
	s_wait_alu 0xf1ff
	v_cndmask_b32_e64 v29, v29, v31, s1
	s_wait_alu 0xfffe
	s_sub_co_i32 s1, s12, s20
	s_cmp_ge_u32 s12, s20
	v_subrev_nc_u32_e32 v30, s21, v23
	s_wait_alu 0xfffe
	s_cselect_b32 s1, s1, s12
	s_abs_i32 s12, s93
	s_wait_alu 0xfffe
	s_xor_b32 s97, s1, s96
	v_cmp_le_u32_e64 s1, s21, v23
	s_mul_u64 s[94:95], s[12:13], s[14:15]
	v_xor_b32_e32 v29, v29, v24
	s_wait_alu 0xfffe
	s_mul_i32 s95, s95, s20
	s_sub_co_i32 s94, s97, s96
	v_cndmask_b32_e64 v23, v23, v30, s1
	v_sub_nc_u32_e32 v30, 0, v27
	s_delay_alu instid0(VALU_DEP_2) | instskip(NEXT) | instid1(VALU_DEP_2)
	v_subrev_nc_u32_e32 v31, s21, v23
	v_max_i32_e32 v30, v27, v30
	v_cmp_le_u32_e64 s1, s21, v23
	v_ashrrev_i32_e32 v27, 31, v27
	s_delay_alu instid0(VALU_DEP_3) | instskip(SKIP_1) | instid1(VALU_DEP_3)
	v_mul_hi_u32 v32, v30, s25
	s_wait_alu 0xf1ff
	v_cndmask_b32_e64 v31, v23, v31, s1
	s_wait_alu 0xfffe
	s_sub_co_i32 s1, s12, s95
	s_ashr_i32 s12, s93, 31
	s_wait_alu 0xfffe
	s_sub_co_i32 s93, s1, s20
	s_cmp_ge_u32 s1, s20
	v_sub_nc_u32_e32 v23, v29, v24
	v_xor_b32_e32 v29, v31, v28
	v_mul_lo_u32 v31, v32, s21
	s_cselect_b32 s1, s93, s1
	v_sub_nc_u32_e32 v32, 0, v26
	s_wait_alu 0xfffe
	s_sub_co_i32 s93, s1, s20
	s_cmp_ge_u32 s1, s20
	v_mad_co_u64_u32 v[23:24], null, s94, s18, v[23:24]
	s_cselect_b32 s1, s93, s1
	v_sub_nc_u32_e32 v24, v29, v28
	s_wait_alu 0xfffe
	s_xor_b32 s1, s1, s12
	v_sub_nc_u32_e32 v30, v30, v31
	v_max_i32_e32 v31, v26, v32
	s_wait_alu 0xfffe
	s_sub_co_i32 s1, s1, s12
	s_abs_i32 s12, s92
	s_wait_alu 0xfffe
	v_mad_co_u64_u32 v[28:29], null, s1, s18, v[24:25]
	v_mul_hi_u32 v29, v31, s25
	v_subrev_nc_u32_e32 v24, s21, v30
	v_cmp_le_u32_e64 s1, s21, v30
	s_mul_u64 s[94:95], s[12:13], s[14:15]
	v_ashrrev_i32_e32 v32, 31, v26
	v_mul_lo_u32 v23, v23, s19
	v_cndmask_b32_e64 v30, v30, v24, s1
	s_wait_alu 0xfffe
	s_mul_i32 s1, s95, s20
	v_mul_lo_u32 v24, v28, s19
	v_mul_lo_u32 v28, v29, s21
	s_wait_alu 0xfffe
	s_sub_co_i32 s1, s12, s1
	s_ashr_i32 s12, s92, 31
	s_wait_alu 0xfffe
	s_sub_co_i32 s92, s1, s20
	s_cmp_ge_u32 s1, s20
	v_subrev_nc_u32_e32 v29, s21, v30
	s_cselect_b32 s92, s92, s1
	v_cmp_le_u32_e64 s1, s21, v30
	v_sub_nc_u32_e32 v28, v31, v28
	s_wait_alu 0xf1ff
	s_delay_alu instid0(VALU_DEP_2)
	v_cndmask_b32_e64 v29, v30, v29, s1
	s_sub_co_i32 s1, s92, s20
	v_sub_nc_u32_e32 v30, 0, v25
	s_cmp_ge_u32 s92, s20
	v_subrev_nc_u32_e32 v31, s21, v28
	s_wait_alu 0xfffe
	s_cselect_b32 s92, s1, s92
	v_cmp_le_u32_e64 s1, s21, v28
	v_xor_b32_e32 v29, v29, v27
	v_max_i32_e32 v30, v25, v30
	v_ashrrev_i32_e32 v25, 31, v25
	s_wait_alu 0xf1ff
	v_cndmask_b32_e64 v28, v28, v31, s1
	v_sub_nc_u32_e32 v27, v29, v27
	s_xor_b32 s1, s92, s12
	v_mul_hi_u32 v29, v30, s25
	s_wait_alu 0xfffe
	s_sub_co_i32 s94, s1, s12
	v_subrev_nc_u32_e32 v31, s21, v28
	v_cmp_le_u32_e64 s1, s21, v28
	s_abs_i32 s12, s91
	s_ashr_i32 s91, s91, 31
	s_wait_alu 0xfffe
	s_mul_u64 s[92:93], s[12:13], s[14:15]
	v_cndmask_b32_e64 v28, v28, v31, s1
	s_mul_i32 s1, s93, s20
	v_mul_lo_u32 v29, v29, s21
	s_wait_alu 0xfffe
	s_sub_co_i32 s1, s12, s1
	s_wait_alu 0xfffe
	s_sub_co_i32 s12, s1, s20
	s_cmp_ge_u32 s1, s20
	v_mad_co_u64_u32 v[26:27], null, s94, s18, v[27:28]
	s_wait_alu 0xfffe
	s_cselect_b32 s1, s12, s1
	v_xor_b32_e32 v27, v28, v32
	v_sub_nc_u32_e32 v28, v30, v29
	s_wait_alu 0xfffe
	s_sub_co_i32 s12, s1, s20
	s_cmp_ge_u32 s1, s20
	v_sub_nc_u32_e32 v30, 0, v10
	s_wait_alu 0xfffe
	s_cselect_b32 s1, s12, s1
	v_subrev_nc_u32_e32 v29, s21, v28
	s_wait_alu 0xfffe
	s_xor_b32 s94, s1, s91
	v_cmp_le_u32_e64 s1, s21, v28
	s_abs_i32 s12, s90
	v_sub_nc_u32_e32 v27, v27, v32
	s_wait_alu 0xfffe
	s_mul_u64 s[92:93], s[12:13], s[14:15]
	s_sub_co_i32 s91, s94, s91
	v_cndmask_b32_e64 v28, v28, v29, s1
	v_max_i32_e32 v29, v10, v30
	s_mul_i32 s92, s93, s20
	v_ashrrev_i32_e32 v10, 31, v10
	s_delay_alu instid0(VALU_DEP_3) | instskip(NEXT) | instid1(VALU_DEP_3)
	v_subrev_nc_u32_e32 v30, s21, v28
	v_mul_hi_u32 v31, v29, s25
	v_cmp_le_u32_e64 s1, s21, v28
	s_wait_alu 0xf1ff
	s_delay_alu instid0(VALU_DEP_1)
	v_cndmask_b32_e64 v30, v28, v30, s1
	s_sub_co_i32 s1, s12, s92
	s_ashr_i32 s12, s90, 31
	s_wait_alu 0xfffe
	s_sub_co_i32 s90, s1, s20
	s_cmp_ge_u32 s1, s20
	v_mul_lo_u32 v31, v31, s21
	s_wait_alu 0xfffe
	s_cselect_b32 s1, s90, s1
	v_mad_co_u64_u32 v[27:28], null, s91, s18, v[27:28]
	v_xor_b32_e32 v28, v30, v25
	s_wait_alu 0xfffe
	s_sub_co_i32 s90, s1, s20
	s_cmp_ge_u32 s1, s20
	s_wait_alu 0xfffe
	s_cselect_b32 s1, s90, s1
	v_sub_nc_u32_e32 v30, v29, v31
	v_sub_nc_u32_e32 v29, 0, v9
	;; [unrolled: 1-line block ×3, first 2 shown]
	s_wait_alu 0xfffe
	s_xor_b32 s1, s1, s12
	s_wait_alu 0xfffe
	s_sub_co_i32 s1, s1, s12
	v_subrev_nc_u32_e32 v31, s21, v30
	v_max_i32_e32 v32, v9, v29
	s_wait_alu 0xfffe
	v_mad_co_u64_u32 v[28:29], null, s1, s18, v[25:26]
	v_cmp_le_u32_e64 s1, s21, v30
	s_abs_i32 s12, s89
	v_mul_lo_u32 v25, v26, s19
	v_mul_lo_u32 v26, v27, s19
	s_wait_alu 0xfffe
	s_mul_u64 s[90:91], s[12:13], s[14:15]
	v_cndmask_b32_e64 v29, v30, v31, s1
	v_mul_hi_u32 v30, v32, s25
	v_mul_lo_u32 v27, v28, s19
	s_wait_alu 0xfffe
	s_mul_i32 s90, s91, s20
	s_ashr_i32 s89, s89, 31
	v_subrev_nc_u32_e32 v28, s21, v29
	v_cmp_le_u32_e64 s1, s21, v29
	s_delay_alu instid0(VALU_DEP_4) | instskip(SKIP_1) | instid1(VALU_DEP_2)
	v_mul_lo_u32 v30, v30, s21
	s_wait_alu 0xf1ff
	v_cndmask_b32_e64 v28, v29, v28, s1
	s_wait_alu 0xfffe
	s_sub_co_i32 s1, s12, s90
	s_wait_alu 0xfffe
	s_sub_co_i32 s12, s1, s20
	s_cmp_ge_u32 s1, s20
	v_xor_b32_e32 v28, v28, v10
	s_wait_alu 0xfffe
	s_cselect_b32 s1, s12, s1
	v_sub_nc_u32_e32 v29, v32, v30
	s_wait_alu 0xfffe
	s_sub_co_i32 s12, s1, s20
	s_cmp_ge_u32 s1, s20
	v_sub_nc_u32_e32 v10, v28, v10
	s_wait_alu 0xfffe
	s_cselect_b32 s1, s12, s1
	v_subrev_nc_u32_e32 v28, s21, v29
	s_wait_alu 0xfffe
	s_xor_b32 s92, s1, s89
	v_sub_nc_u32_e32 v30, 0, v8
	v_cmp_le_u32_e64 s1, s21, v29
	s_abs_i32 s12, s88
	s_sub_co_i32 s89, s92, s89
	s_wait_alu 0xfffe
	s_mul_u64 s[90:91], s[12:13], s[14:15]
	s_ashr_i32 s88, s88, 31
	v_cndmask_b32_e64 v28, v29, v28, s1
	v_max_i32_e32 v29, v8, v30
	s_wait_alu 0xfffe
	s_mul_i32 s1, s91, s20
	v_ashrrev_i32_e32 v30, 31, v9
	s_wait_alu 0xfffe
	s_sub_co_i32 s12, s12, s1
	v_subrev_nc_u32_e32 v9, s21, v28
	v_mul_hi_u32 v31, v29, s25
	v_cmp_le_u32_e64 s1, s21, v28
	s_wait_alu 0xfffe
	s_sub_co_i32 s90, s12, s20
	s_cmp_ge_u32 s12, s20
	v_ashrrev_i32_e32 v8, 31, v8
	v_cndmask_b32_e64 v28, v28, v9, s1
	s_wait_alu 0xfffe
	s_cselect_b32 s1, s90, s12
	v_mul_lo_u32 v31, v31, s21
	v_mad_co_u64_u32 v[9:10], null, s89, s18, v[10:11]
	v_sub_nc_u32_e32 v10, 0, v7
	v_xor_b32_e32 v28, v28, v30
	s_wait_alu 0xfffe
	s_sub_co_i32 s12, s1, s20
	s_cmp_ge_u32 s1, s20
	s_wait_alu 0xfffe
	s_cselect_b32 s1, s12, s1
	v_sub_nc_u32_e32 v31, v29, v31
	v_max_i32_e32 v32, v7, v10
	v_sub_nc_u32_e32 v10, v28, v30
	s_wait_alu 0xfffe
	s_xor_b32 s1, s1, s88
	s_abs_i32 s12, s87
	s_wait_alu 0xfffe
	s_sub_co_i32 s1, s1, s88
	v_subrev_nc_u32_e32 v28, s21, v31
	s_wait_alu 0xfffe
	v_mad_co_u64_u32 v[29:30], null, s1, s18, v[10:11]
	v_cmp_le_u32_e64 s1, s21, v31
	v_mul_hi_u32 v33, v32, s25
	s_mul_u64 s[88:89], s[12:13], s[14:15]
	v_ashrrev_i32_e32 v7, 31, v7
	v_cndmask_b32_e64 v10, v31, v28, s1
	s_wait_alu 0xfffe
	s_mul_i32 s1, s89, s20
	v_sub_nc_u32_e32 v31, 0, v6
	s_wait_alu 0xfffe
	s_sub_co_i32 s1, s12, s1
	v_mul_lo_u32 v28, v33, s21
	s_ashr_i32 s12, s87, 31
	s_wait_alu 0xfffe
	s_sub_co_i32 s87, s1, s20
	s_cmp_ge_u32 s1, s20
	v_subrev_nc_u32_e32 v30, s21, v10
	s_cselect_b32 s87, s87, s1
	v_cmp_le_u32_e64 s1, s21, v10
	v_mul_lo_u32 v29, v29, s19
	v_sub_nc_u32_e32 v28, v32, v28
	v_max_i32_e32 v32, v6, v31
	s_wait_alu 0xf1ff
	v_cndmask_b32_e64 v10, v10, v30, s1
	s_sub_co_i32 s1, s87, s20
	s_cmp_ge_u32 s87, s20
	v_subrev_nc_u32_e32 v30, s21, v28
	s_wait_alu 0xfffe
	s_cselect_b32 s87, s1, s87
	v_xor_b32_e32 v10, v10, v8
	v_cmp_le_u32_e64 s1, s21, v28
	v_mul_hi_u32 v31, v32, s25
	s_delay_alu instid0(VALU_DEP_3) | instskip(SKIP_1) | instid1(VALU_DEP_3)
	v_sub_nc_u32_e32 v8, v10, v8
	s_wait_alu 0xf1ff
	v_cndmask_b32_e64 v28, v28, v30, s1
	s_xor_b32 s1, s87, s12
	s_wait_alu 0xfffe
	s_sub_co_i32 s1, s1, s12
	s_delay_alu instid0(VALU_DEP_3)
	v_mul_lo_u32 v33, v31, s21
	v_subrev_nc_u32_e32 v10, s21, v28
	s_wait_alu 0xfffe
	v_mad_co_u64_u32 v[30:31], null, s1, s18, v[8:9]
	v_cmp_le_u32_e64 s1, s21, v28
	s_abs_i32 s12, s86
	s_wait_alu 0xfffe
	s_mul_u64 s[88:89], s[12:13], s[14:15]
	s_ashr_i32 s88, s86, 31
	v_cndmask_b32_e64 v8, v28, v10, s1
	v_sub_nc_u32_e32 v28, 0, v5
	s_wait_alu 0xfffe
	s_mul_i32 s1, s89, s20
	v_sub_nc_u32_e32 v10, v32, v33
	s_wait_alu 0xfffe
	s_sub_co_i32 s1, s12, s1
	v_xor_b32_e32 v8, v8, v7
	v_max_i32_e32 v28, v5, v28
	s_wait_alu 0xfffe
	s_sub_co_i32 s12, s1, s20
	s_cmp_ge_u32 s1, s20
	v_subrev_nc_u32_e32 v31, s21, v10
	s_wait_alu 0xfffe
	s_cselect_b32 s12, s12, s1
	v_cmp_le_u32_e64 s1, s21, v10
	v_sub_nc_u32_e32 v7, v8, v7
	v_mul_hi_u32 v8, v28, s25
	s_wait_alu 0xfffe
	s_sub_co_i32 s86, s12, s20
	s_cmp_ge_u32 s12, s20
	v_cndmask_b32_e64 v10, v10, v31, s1
	s_cselect_b32 s89, s86, s12
	s_abs_i32 s12, s85
	v_ashrrev_i32_e32 v32, 31, v6
	s_wait_alu 0xfffe
	s_mul_u64 s[86:87], s[12:13], s[14:15]
	v_mul_lo_u32 v8, v8, s21
	v_subrev_nc_u32_e32 v31, s21, v10
	v_cmp_le_u32_e64 s1, s21, v10
	s_mul_i32 s86, s87, s20
	s_ashr_i32 s85, s85, 31
	s_sub_co_i32 s12, s12, s86
	v_ashrrev_i32_e32 v5, 31, v5
	v_cndmask_b32_e64 v6, v10, v31, s1
	s_xor_b32 s1, s89, s88
	s_wait_alu 0xfffe
	s_sub_co_i32 s86, s12, s20
	s_sub_co_i32 s1, s1, s88
	v_sub_nc_u32_e32 v8, v28, v8
	s_cmp_ge_u32 s12, s20
	v_xor_b32_e32 v10, v6, v32
	s_cselect_b32 s12, s86, s12
	v_sub_nc_u32_e32 v31, 0, v3
	s_wait_alu 0xfffe
	v_mad_co_u64_u32 v[6:7], null, s1, s18, v[7:8]
	s_sub_co_i32 s1, s12, s20
	s_cmp_ge_u32 s12, s20
	v_subrev_nc_u32_e32 v28, s21, v8
	s_wait_alu 0xfffe
	s_cselect_b32 s86, s1, s12
	v_cmp_le_u32_e64 s1, s21, v8
	s_abs_i32 s12, s84
	v_sub_nc_u32_e32 v7, v10, v32
	s_ashr_i32 s84, s84, 31
	v_mul_lo_u32 v30, v30, s19
	v_cndmask_b32_e64 v8, v8, v28, s1
	v_sub_nc_u32_e32 v28, 0, v4
	s_xor_b32 s1, s86, s85
	s_wait_alu 0xfffe
	s_mul_u64 s[86:87], s[12:13], s[14:15]
	s_sub_co_i32 s85, s1, s85
	v_subrev_nc_u32_e32 v10, s21, v8
	v_max_i32_e32 v28, v4, v28
	v_cmp_le_u32_e64 s1, s21, v8
	s_mul_i32 s86, s87, s20
	v_ashrrev_i32_e32 v4, 31, v4
	v_mul_hi_u32 v32, v28, s25
	v_cndmask_b32_e64 v10, v8, v10, s1
	s_sub_co_i32 s1, s12, s86
	s_wait_alu 0xfffe
	v_mad_co_u64_u32 v[7:8], null, s85, s18, v[7:8]
	s_sub_co_i32 s12, s1, s20
	v_max_i32_e32 v8, v3, v31
	s_cmp_ge_u32 s1, s20
	v_mul_lo_u32 v31, v32, s21
	s_wait_alu 0xfffe
	s_cselect_b32 s1, s12, s1
	v_xor_b32_e32 v10, v10, v5
	s_wait_alu 0xfffe
	s_sub_co_i32 s12, s1, s20
	v_mul_hi_u32 v32, v8, s25
	s_cmp_ge_u32 s1, s20
	s_wait_alu 0xfffe
	s_cselect_b32 s1, s12, s1
	v_sub_nc_u32_e32 v5, v10, v5
	s_wait_alu 0xfffe
	s_xor_b32 s1, s1, s84
	s_abs_i32 s12, s83
	v_sub_nc_u32_e32 v10, v28, v31
	s_wait_alu 0xfffe
	s_sub_co_i32 s1, s1, s84
	s_mul_u64 s[84:85], s[12:13], s[14:15]
	v_mul_lo_u32 v28, v32, s21
	s_wait_alu 0xfffe
	v_mad_co_u64_u32 v[33:34], null, s1, s18, v[5:6]
	s_mul_i32 s1, s85, s20
	v_subrev_nc_u32_e32 v5, s21, v10
	s_wait_alu 0xfffe
	s_sub_co_i32 s12, s12, s1
	v_cmp_le_u32_e64 s1, s21, v10
	s_ashr_i32 s83, s83, 31
	s_wait_alu 0xfffe
	s_sub_co_i32 s84, s12, s20
	s_cmp_ge_u32 s12, s20
	v_sub_nc_u32_e32 v8, v8, v28
	v_cndmask_b32_e64 v5, v10, v5, s1
	s_wait_alu 0xfffe
	s_cselect_b32 s1, s84, s12
	v_mul_lo_u32 v31, v6, s19
	s_wait_alu 0xfffe
	s_sub_co_i32 s12, s1, s20
	s_cmp_ge_u32 s1, s20
	v_subrev_nc_u32_e32 v10, s21, v8
	s_wait_alu 0xfffe
	s_cselect_b32 s86, s12, s1
	v_cmp_le_u32_e64 s1, s21, v8
	v_subrev_nc_u32_e32 v28, s21, v5
	s_abs_i32 s12, s82
	v_mul_lo_u32 v32, v7, s19
	s_wait_alu 0xfffe
	s_mul_u64 s[84:85], s[12:13], s[14:15]
	v_cndmask_b32_e64 v8, v8, v10, s1
	v_cmp_le_u32_e64 s1, s21, v5
	s_wait_alu 0xfffe
	s_mul_i32 s84, s85, s20
	v_mul_lo_u32 v33, v33, s19
	v_subrev_nc_u32_e32 v10, s21, v8
	v_cndmask_b32_e64 v5, v5, v28, s1
	s_xor_b32 s1, s86, s83
	v_ashrrev_i32_e32 v28, 31, v3
	s_wait_alu 0xfffe
	s_sub_co_i32 s83, s1, s83
	v_cmp_le_u32_e64 s1, s21, v8
	v_xor_b32_e32 v5, v5, v4
	s_wait_alu 0xf1ff
	s_delay_alu instid0(VALU_DEP_2)
	v_cndmask_b32_e64 v3, v8, v10, s1
	s_sub_co_i32 s1, s12, s84
	s_ashr_i32 s12, s82, 31
	s_wait_alu 0xfffe
	s_sub_co_i32 s82, s1, s20
	s_cmp_ge_u32 s1, s20
	v_xor_b32_e32 v8, v3, v28
	s_wait_alu 0xfffe
	s_cselect_b32 s1, s82, s1
	v_sub_nc_u32_e32 v3, v5, v4
	s_wait_alu 0xfffe
	s_sub_co_i32 s82, s1, s20
	s_cmp_ge_u32 s1, s20
	v_sub_nc_u32_e32 v4, v8, v28
	s_wait_alu 0xfffe
	s_cselect_b32 s1, s82, s1
	v_mul_lo_u32 v28, v9, s19
	s_wait_alu 0xfffe
	s_xor_b32 s1, s1, s12
	s_wait_alu 0xfffe
	s_sub_co_i32 s1, s1, s12
	v_mad_co_u64_u32 v[34:35], null, s83, s18, v[3:4]
	s_wait_alu 0xfffe
	v_mad_co_u64_u32 v[3:4], null, s1, s18, v[4:5]
	s_mov_b32 s12, 0
	v_mul_lo_u32 v34, v34, s19
	v_mul_lo_u32 v35, v3, s19
	s_branch .LBB1_10
.LBB1_8:                                ;   in Loop: Header=BB1_10 Depth=3
	s_wait_alu 0xfffe
	s_or_b32 exec_lo, exec_lo, s83
	global_load_u16 v3, v[5:6], off
	s_wait_loadcnt 0x0
	v_or_b32_e32 v3, 0x200, v3
	global_store_b16 v[5:6], v3, off
.LBB1_9:                                ;   in Loop: Header=BB1_10 Depth=3
	s_wait_alu 0xfffe
	s_or_b32 exec_lo, exec_lo, s82
	v_add_nc_u32_e32 v36, s78, v36
	s_delay_alu instid0(VALU_DEP_1)
	v_cmp_le_i32_e64 s1, s19, v36
	s_or_b32 s12, s1, s12
	s_wait_alu 0xfffe
	s_and_not1_b32 exec_lo, exec_lo, s12
	s_cbranch_execz .LBB1_5
.LBB1_10:                               ;   Parent Loop BB1_3 Depth=1
                                        ;     Parent Loop BB1_6 Depth=2
                                        ; =>    This Inner Loop Header: Depth=3
	v_add_nc_u32_e32 v3, s19, v36
	s_mov_b32 s82, exec_lo
	s_delay_alu instid0(VALU_DEP_1) | instskip(NEXT) | instid1(VALU_DEP_1)
	v_sub_nc_u32_e32 v4, 0, v3
	v_max_i32_e32 v4, v3, v4
	v_ashrrev_i32_e32 v3, 31, v3
	s_delay_alu instid0(VALU_DEP_2) | instskip(NEXT) | instid1(VALU_DEP_1)
	v_mul_hi_u32 v5, v4, s26
	v_mul_lo_u32 v5, v5, s22
	s_delay_alu instid0(VALU_DEP_1) | instskip(NEXT) | instid1(VALU_DEP_1)
	v_sub_nc_u32_e32 v4, v4, v5
	v_subrev_nc_u32_e32 v5, s22, v4
	v_cmp_le_u32_e64 s1, s22, v4
	s_wait_alu 0xf1ff
	s_delay_alu instid0(VALU_DEP_1) | instskip(NEXT) | instid1(VALU_DEP_1)
	v_cndmask_b32_e64 v4, v4, v5, s1
	v_subrev_nc_u32_e32 v5, s22, v4
	v_cmp_le_u32_e64 s1, s22, v4
	s_wait_alu 0xf1ff
	s_delay_alu instid0(VALU_DEP_1) | instskip(NEXT) | instid1(VALU_DEP_1)
	v_cndmask_b32_e64 v4, v4, v5, s1
	v_xor_b32_e32 v4, v4, v3
	s_delay_alu instid0(VALU_DEP_1) | instskip(NEXT) | instid1(VALU_DEP_1)
	v_sub_nc_u32_e32 v3, v4, v3
	v_add_nc_u32_e32 v5, v17, v3
	s_delay_alu instid0(VALU_DEP_1) | instskip(SKIP_2) | instid1(VALU_DEP_2)
	v_ashrrev_i32_e32 v6, 31, v5
	v_add_co_u32 v3, s1, s4, v5
	s_wait_alu 0xf1ff
	v_add_co_ci_u32_e64 v4, null, s5, v6, s1
	global_load_i8 v37, v[3:4], off
	s_wait_loadcnt 0x0
	v_cmpx_gt_i16_e32 4, v37
	s_cbranch_execz .LBB1_9
; %bb.11:                               ;   in Loop: Header=BB1_10 Depth=3
	v_add_nc_u32_e32 v7, s75, v36
	v_lshlrev_b64_e32 v[41:42], 2, v[5:6]
	s_mov_b32 s83, exec_lo
	s_delay_alu instid0(VALU_DEP_2) | instskip(NEXT) | instid1(VALU_DEP_1)
	v_sub_nc_u32_e32 v8, 0, v7
	v_max_i32_e32 v8, v7, v8
	v_ashrrev_i32_e32 v7, 31, v7
	s_delay_alu instid0(VALU_DEP_2) | instskip(NEXT) | instid1(VALU_DEP_1)
	v_mul_hi_u32 v9, v8, s26
	v_mul_lo_u32 v9, v9, s22
	s_delay_alu instid0(VALU_DEP_1) | instskip(NEXT) | instid1(VALU_DEP_1)
	v_sub_nc_u32_e32 v8, v8, v9
	v_subrev_nc_u32_e32 v9, s22, v8
	v_cmp_le_u32_e64 s1, s22, v8
	s_wait_alu 0xf1ff
	s_delay_alu instid0(VALU_DEP_1) | instskip(NEXT) | instid1(VALU_DEP_1)
	v_cndmask_b32_e64 v8, v8, v9, s1
	v_subrev_nc_u32_e32 v9, s22, v8
	v_cmp_le_u32_e64 s1, s22, v8
	s_wait_alu 0xf1ff
	s_delay_alu instid0(VALU_DEP_1) | instskip(NEXT) | instid1(VALU_DEP_1)
	v_cndmask_b32_e64 v8, v8, v9, s1
	v_xor_b32_e32 v8, v8, v7
	s_delay_alu instid0(VALU_DEP_1) | instskip(NEXT) | instid1(VALU_DEP_1)
	v_sub_nc_u32_e32 v7, v8, v7
	v_add_nc_u32_e32 v38, v18, v7
	s_delay_alu instid0(VALU_DEP_1) | instskip(SKIP_2) | instid1(VALU_DEP_2)
	v_ashrrev_i32_e32 v39, 31, v38
	v_add_co_u32 v9, s1, s4, v38
	s_wait_alu 0xf1ff
	v_add_co_ci_u32_e64 v10, null, s5, v39, s1
	v_add_co_u32 v7, s1, s6, v5
	s_wait_alu 0xf1ff
	v_add_co_ci_u32_e64 v8, null, s7, v6, s1
	global_load_u8 v40, v[9:10], off
	v_add_co_u32 v5, s1, s2, v41
	s_wait_alu 0xf1ff
	v_add_co_ci_u32_e64 v6, null, s3, v42, s1
	s_wait_loadcnt 0x0
	v_cmpx_eq_u16_e32 10, v40
	s_cbranch_execz .LBB1_13
; %bb.12:                               ;   in Loop: Header=BB1_10 Depth=3
	v_add_co_u32 v38, s1, s6, v38
	s_wait_alu 0xf1ff
	v_add_co_ci_u32_e64 v39, null, s7, v39, s1
	v_mov_b32_e32 v37, 2
	global_load_u16 v41, v[5:6], off
	global_load_u8 v38, v[38:39], off
	global_store_b8 v[3:4], v37, off
	global_load_u8 v40, v[9:10], off
	s_wait_loadcnt 0x2
	v_or_b32_e32 v9, 0x400, v41
	s_wait_loadcnt 0x1
	global_store_b8 v[7:8], v38, off
	global_store_b16 v[5:6], v9, off
.LBB1_13:                               ;   in Loop: Header=BB1_10 Depth=3
	s_wait_alu 0xfffe
	s_or_b32 exec_lo, exec_lo, s83
	s_wait_loadcnt 0x0
	v_and_b32_e32 v9, 0xff, v40
	s_mov_b32 s83, exec_lo
	s_delay_alu instid0(VALU_DEP_1)
	v_cmpx_eq_u16_e32 4, v9
	s_cbranch_execz .LBB1_17
; %bb.14:                               ;   in Loop: Header=BB1_10 Depth=3
	v_mov_b32_e32 v9, 2
	s_mov_b32 s84, exec_lo
	v_cmpx_ne_u16_e32 2, v37
	s_cbranch_execz .LBB1_16
; %bb.15:                               ;   in Loop: Header=BB1_10 Depth=3
	v_mov_b32_e32 v9, 3
	global_store_b8 v[3:4], v9, off
.LBB1_16:                               ;   in Loop: Header=BB1_10 Depth=3
	s_wait_alu 0xfffe
	s_or_b32 exec_lo, exec_lo, s84
	global_load_u16 v10, v[5:6], off
	v_mov_b32_e32 v37, v9
	s_wait_loadcnt 0x0
	v_or_b32_e32 v10, 0x400, v10
	global_store_b16 v[5:6], v10, off
.LBB1_17:                               ;   in Loop: Header=BB1_10 Depth=3
	s_wait_alu 0xfffe
	s_or_b32 exec_lo, exec_lo, s83
	v_add_nc_u32_e32 v9, s74, v36
	s_mov_b32 s83, exec_lo
	s_delay_alu instid0(VALU_DEP_1) | instskip(NEXT) | instid1(VALU_DEP_1)
	v_sub_nc_u32_e32 v10, 0, v9
	v_max_i32_e32 v10, v9, v10
	v_ashrrev_i32_e32 v9, 31, v9
	s_delay_alu instid0(VALU_DEP_2) | instskip(NEXT) | instid1(VALU_DEP_1)
	v_mul_hi_u32 v38, v10, s26
	v_mul_lo_u32 v38, v38, s22
	s_delay_alu instid0(VALU_DEP_1) | instskip(NEXT) | instid1(VALU_DEP_1)
	v_sub_nc_u32_e32 v10, v10, v38
	v_subrev_nc_u32_e32 v38, s22, v10
	v_cmp_le_u32_e64 s1, s22, v10
	s_wait_alu 0xf1ff
	s_delay_alu instid0(VALU_DEP_1) | instskip(NEXT) | instid1(VALU_DEP_1)
	v_cndmask_b32_e64 v10, v10, v38, s1
	v_subrev_nc_u32_e32 v38, s22, v10
	v_cmp_le_u32_e64 s1, s22, v10
	s_wait_alu 0xf1ff
	s_delay_alu instid0(VALU_DEP_1) | instskip(NEXT) | instid1(VALU_DEP_1)
	v_cndmask_b32_e64 v10, v10, v38, s1
	v_xor_b32_e32 v10, v10, v9
	s_delay_alu instid0(VALU_DEP_1) | instskip(NEXT) | instid1(VALU_DEP_1)
	v_sub_nc_u32_e32 v9, v10, v9
	v_add_nc_u32_e32 v38, v19, v9
	s_delay_alu instid0(VALU_DEP_1) | instskip(SKIP_2) | instid1(VALU_DEP_2)
	v_ashrrev_i32_e32 v39, 31, v38
	v_add_co_u32 v9, s1, s4, v38
	s_wait_alu 0xf1ff
	v_add_co_ci_u32_e64 v10, null, s5, v39, s1
	global_load_u8 v40, v[9:10], off
	s_wait_loadcnt 0x0
	v_cmpx_eq_u16_e32 10, v40
	s_cbranch_execz .LBB1_19
; %bb.18:                               ;   in Loop: Header=BB1_10 Depth=3
	v_add_co_u32 v38, s1, s6, v38
	s_wait_alu 0xf1ff
	v_add_co_ci_u32_e64 v39, null, s7, v39, s1
	v_mov_b32_e32 v37, 2
	global_load_u16 v41, v[5:6], off
	global_load_u8 v38, v[38:39], off
	global_store_b8 v[3:4], v37, off
	global_load_u8 v40, v[9:10], off
	s_wait_loadcnt 0x2
	v_or_b32_e32 v9, 0x800, v41
	s_wait_loadcnt 0x1
	global_store_b8 v[7:8], v38, off
	global_store_b16 v[5:6], v9, off
.LBB1_19:                               ;   in Loop: Header=BB1_10 Depth=3
	s_wait_alu 0xfffe
	s_or_b32 exec_lo, exec_lo, s83
	s_wait_loadcnt 0x0
	v_and_b32_e32 v9, 0xff, v40
	s_mov_b32 s83, exec_lo
	s_delay_alu instid0(VALU_DEP_1)
	v_cmpx_eq_u16_e32 4, v9
	s_cbranch_execz .LBB1_23
; %bb.20:                               ;   in Loop: Header=BB1_10 Depth=3
	v_mov_b32_e32 v9, 2
	s_mov_b32 s84, exec_lo
	v_cmpx_ne_u16_e32 2, v37
	s_cbranch_execz .LBB1_22
; %bb.21:                               ;   in Loop: Header=BB1_10 Depth=3
	v_mov_b32_e32 v9, 3
	global_store_b8 v[3:4], v9, off
.LBB1_22:                               ;   in Loop: Header=BB1_10 Depth=3
	s_wait_alu 0xfffe
	s_or_b32 exec_lo, exec_lo, s84
	global_load_u16 v10, v[5:6], off
	v_mov_b32_e32 v37, v9
	s_wait_loadcnt 0x0
	v_or_b32_e32 v10, 0x800, v10
	global_store_b16 v[5:6], v10, off
.LBB1_23:                               ;   in Loop: Header=BB1_10 Depth=3
	s_wait_alu 0xfffe
	s_or_b32 exec_lo, exec_lo, s83
	v_add_nc_u32_e32 v9, s73, v36
	s_mov_b32 s83, exec_lo
	s_delay_alu instid0(VALU_DEP_1) | instskip(NEXT) | instid1(VALU_DEP_1)
	v_sub_nc_u32_e32 v10, 0, v9
	v_max_i32_e32 v10, v9, v10
	v_ashrrev_i32_e32 v9, 31, v9
	s_delay_alu instid0(VALU_DEP_2) | instskip(NEXT) | instid1(VALU_DEP_1)
	v_mul_hi_u32 v38, v10, s26
	v_mul_lo_u32 v38, v38, s22
	s_delay_alu instid0(VALU_DEP_1) | instskip(NEXT) | instid1(VALU_DEP_1)
	v_sub_nc_u32_e32 v10, v10, v38
	v_subrev_nc_u32_e32 v38, s22, v10
	v_cmp_le_u32_e64 s1, s22, v10
	s_wait_alu 0xf1ff
	s_delay_alu instid0(VALU_DEP_1) | instskip(NEXT) | instid1(VALU_DEP_1)
	v_cndmask_b32_e64 v10, v10, v38, s1
	v_subrev_nc_u32_e32 v38, s22, v10
	v_cmp_le_u32_e64 s1, s22, v10
	s_wait_alu 0xf1ff
	s_delay_alu instid0(VALU_DEP_1) | instskip(NEXT) | instid1(VALU_DEP_1)
	v_cndmask_b32_e64 v10, v10, v38, s1
	v_xor_b32_e32 v10, v10, v9
	s_delay_alu instid0(VALU_DEP_1) | instskip(NEXT) | instid1(VALU_DEP_1)
	v_sub_nc_u32_e32 v9, v10, v9
	v_add_nc_u32_e32 v38, v20, v9
	s_delay_alu instid0(VALU_DEP_1) | instskip(SKIP_2) | instid1(VALU_DEP_2)
	v_ashrrev_i32_e32 v39, 31, v38
	v_add_co_u32 v9, s1, s4, v38
	s_wait_alu 0xf1ff
	v_add_co_ci_u32_e64 v10, null, s5, v39, s1
	global_load_u8 v40, v[9:10], off
	s_wait_loadcnt 0x0
	v_cmpx_eq_u16_e32 10, v40
	s_cbranch_execz .LBB1_25
; %bb.24:                               ;   in Loop: Header=BB1_10 Depth=3
	v_add_co_u32 v38, s1, s6, v38
	s_wait_alu 0xf1ff
	v_add_co_ci_u32_e64 v39, null, s7, v39, s1
	v_mov_b32_e32 v37, 2
	global_load_u16 v41, v[5:6], off
	global_load_u8 v38, v[38:39], off
	global_store_b8 v[3:4], v37, off
	global_load_u8 v40, v[9:10], off
	s_wait_loadcnt 0x2
	v_or_b32_e32 v9, 0x1000, v41
	s_wait_loadcnt 0x1
	global_store_b8 v[7:8], v38, off
	global_store_b16 v[5:6], v9, off
.LBB1_25:                               ;   in Loop: Header=BB1_10 Depth=3
	s_wait_alu 0xfffe
	s_or_b32 exec_lo, exec_lo, s83
	s_wait_loadcnt 0x0
	v_and_b32_e32 v9, 0xff, v40
	s_mov_b32 s83, exec_lo
	s_delay_alu instid0(VALU_DEP_1)
	v_cmpx_eq_u16_e32 4, v9
	s_cbranch_execz .LBB1_29
; %bb.26:                               ;   in Loop: Header=BB1_10 Depth=3
	v_mov_b32_e32 v9, 2
	s_mov_b32 s84, exec_lo
	v_cmpx_ne_u16_e32 2, v37
	s_cbranch_execz .LBB1_28
; %bb.27:                               ;   in Loop: Header=BB1_10 Depth=3
	v_mov_b32_e32 v9, 3
	global_store_b8 v[3:4], v9, off
.LBB1_28:                               ;   in Loop: Header=BB1_10 Depth=3
	s_wait_alu 0xfffe
	s_or_b32 exec_lo, exec_lo, s84
	global_load_u16 v10, v[5:6], off
	v_mov_b32_e32 v37, v9
	s_wait_loadcnt 0x0
	v_or_b32_e32 v10, 0x1000, v10
	global_store_b16 v[5:6], v10, off
.LBB1_29:                               ;   in Loop: Header=BB1_10 Depth=3
	s_wait_alu 0xfffe
	s_or_b32 exec_lo, exec_lo, s83
	v_add_nc_u32_e32 v9, s72, v36
	s_mov_b32 s83, exec_lo
	s_delay_alu instid0(VALU_DEP_1) | instskip(NEXT) | instid1(VALU_DEP_1)
	v_sub_nc_u32_e32 v10, 0, v9
	v_max_i32_e32 v10, v9, v10
	v_ashrrev_i32_e32 v9, 31, v9
	s_delay_alu instid0(VALU_DEP_2) | instskip(NEXT) | instid1(VALU_DEP_1)
	v_mul_hi_u32 v38, v10, s26
	v_mul_lo_u32 v38, v38, s22
	s_delay_alu instid0(VALU_DEP_1) | instskip(NEXT) | instid1(VALU_DEP_1)
	v_sub_nc_u32_e32 v10, v10, v38
	v_subrev_nc_u32_e32 v38, s22, v10
	v_cmp_le_u32_e64 s1, s22, v10
	s_wait_alu 0xf1ff
	s_delay_alu instid0(VALU_DEP_1) | instskip(NEXT) | instid1(VALU_DEP_1)
	v_cndmask_b32_e64 v10, v10, v38, s1
	v_subrev_nc_u32_e32 v38, s22, v10
	v_cmp_le_u32_e64 s1, s22, v10
	s_wait_alu 0xf1ff
	s_delay_alu instid0(VALU_DEP_1) | instskip(NEXT) | instid1(VALU_DEP_1)
	v_cndmask_b32_e64 v10, v10, v38, s1
	v_xor_b32_e32 v10, v10, v9
	s_delay_alu instid0(VALU_DEP_1) | instskip(NEXT) | instid1(VALU_DEP_1)
	v_sub_nc_u32_e32 v9, v10, v9
	v_add_nc_u32_e32 v38, v21, v9
	s_delay_alu instid0(VALU_DEP_1) | instskip(SKIP_2) | instid1(VALU_DEP_2)
	v_ashrrev_i32_e32 v39, 31, v38
	v_add_co_u32 v9, s1, s4, v38
	s_wait_alu 0xf1ff
	v_add_co_ci_u32_e64 v10, null, s5, v39, s1
	global_load_u8 v40, v[9:10], off
	s_wait_loadcnt 0x0
	v_cmpx_eq_u16_e32 10, v40
	s_cbranch_execz .LBB1_31
; %bb.30:                               ;   in Loop: Header=BB1_10 Depth=3
	v_add_co_u32 v38, s1, s6, v38
	s_wait_alu 0xf1ff
	v_add_co_ci_u32_e64 v39, null, s7, v39, s1
	v_mov_b32_e32 v37, 2
	global_load_u16 v41, v[5:6], off
	global_load_u8 v38, v[38:39], off
	global_store_b8 v[3:4], v37, off
	global_load_u8 v40, v[9:10], off
	s_wait_loadcnt 0x2
	v_or_b32_e32 v9, 0x2000, v41
	s_wait_loadcnt 0x1
	global_store_b8 v[7:8], v38, off
	global_store_b16 v[5:6], v9, off
.LBB1_31:                               ;   in Loop: Header=BB1_10 Depth=3
	s_wait_alu 0xfffe
	s_or_b32 exec_lo, exec_lo, s83
	s_wait_loadcnt 0x0
	v_and_b32_e32 v9, 0xff, v40
	s_mov_b32 s83, exec_lo
	s_delay_alu instid0(VALU_DEP_1)
	v_cmpx_eq_u16_e32 4, v9
	s_cbranch_execz .LBB1_35
; %bb.32:                               ;   in Loop: Header=BB1_10 Depth=3
	v_mov_b32_e32 v9, 2
	s_mov_b32 s84, exec_lo
	v_cmpx_ne_u16_e32 2, v37
	s_cbranch_execz .LBB1_34
; %bb.33:                               ;   in Loop: Header=BB1_10 Depth=3
	v_mov_b32_e32 v9, 3
	global_store_b8 v[3:4], v9, off
.LBB1_34:                               ;   in Loop: Header=BB1_10 Depth=3
	s_wait_alu 0xfffe
	s_or_b32 exec_lo, exec_lo, s84
	global_load_u16 v10, v[5:6], off
	v_mov_b32_e32 v37, v9
	s_wait_loadcnt 0x0
	v_or_b32_e32 v10, 0x2000, v10
	global_store_b16 v[5:6], v10, off
.LBB1_35:                               ;   in Loop: Header=BB1_10 Depth=3
	s_wait_alu 0xfffe
	s_or_b32 exec_lo, exec_lo, s83
	v_add_nc_u32_e32 v9, s71, v36
	s_mov_b32 s83, exec_lo
	s_delay_alu instid0(VALU_DEP_1) | instskip(NEXT) | instid1(VALU_DEP_1)
	v_sub_nc_u32_e32 v10, 0, v9
	v_max_i32_e32 v10, v9, v10
	v_ashrrev_i32_e32 v9, 31, v9
	s_delay_alu instid0(VALU_DEP_2) | instskip(NEXT) | instid1(VALU_DEP_1)
	v_mul_hi_u32 v38, v10, s26
	v_mul_lo_u32 v38, v38, s22
	s_delay_alu instid0(VALU_DEP_1) | instskip(NEXT) | instid1(VALU_DEP_1)
	v_sub_nc_u32_e32 v10, v10, v38
	v_subrev_nc_u32_e32 v38, s22, v10
	v_cmp_le_u32_e64 s1, s22, v10
	s_wait_alu 0xf1ff
	s_delay_alu instid0(VALU_DEP_1) | instskip(NEXT) | instid1(VALU_DEP_1)
	v_cndmask_b32_e64 v10, v10, v38, s1
	v_subrev_nc_u32_e32 v38, s22, v10
	v_cmp_le_u32_e64 s1, s22, v10
	s_wait_alu 0xf1ff
	s_delay_alu instid0(VALU_DEP_1) | instskip(NEXT) | instid1(VALU_DEP_1)
	v_cndmask_b32_e64 v10, v10, v38, s1
	v_xor_b32_e32 v10, v10, v9
	s_delay_alu instid0(VALU_DEP_1) | instskip(NEXT) | instid1(VALU_DEP_1)
	v_sub_nc_u32_e32 v9, v10, v9
	v_add_nc_u32_e32 v38, v22, v9
	s_delay_alu instid0(VALU_DEP_1) | instskip(SKIP_2) | instid1(VALU_DEP_2)
	v_ashrrev_i32_e32 v39, 31, v38
	v_add_co_u32 v9, s1, s4, v38
	s_wait_alu 0xf1ff
	v_add_co_ci_u32_e64 v10, null, s5, v39, s1
	global_load_u8 v40, v[9:10], off
	s_wait_loadcnt 0x0
	v_cmpx_eq_u16_e32 10, v40
	s_cbranch_execz .LBB1_37
; %bb.36:                               ;   in Loop: Header=BB1_10 Depth=3
	v_add_co_u32 v38, s1, s6, v38
	s_wait_alu 0xf1ff
	v_add_co_ci_u32_e64 v39, null, s7, v39, s1
	v_mov_b32_e32 v37, 2
	global_load_u16 v41, v[5:6], off
	global_load_u8 v38, v[38:39], off
	global_store_b8 v[3:4], v37, off
	global_load_u8 v40, v[9:10], off
	s_wait_loadcnt 0x2
	v_or_b32_e32 v9, 0x4000, v41
	s_wait_loadcnt 0x1
	global_store_b8 v[7:8], v38, off
	global_store_b16 v[5:6], v9, off
.LBB1_37:                               ;   in Loop: Header=BB1_10 Depth=3
	s_wait_alu 0xfffe
	s_or_b32 exec_lo, exec_lo, s83
	s_wait_loadcnt 0x0
	v_and_b32_e32 v9, 0xff, v40
	s_mov_b32 s83, exec_lo
	s_delay_alu instid0(VALU_DEP_1)
	v_cmpx_eq_u16_e32 4, v9
	s_cbranch_execz .LBB1_41
; %bb.38:                               ;   in Loop: Header=BB1_10 Depth=3
	v_mov_b32_e32 v9, 2
	s_mov_b32 s84, exec_lo
	v_cmpx_ne_u16_e32 2, v37
	s_cbranch_execz .LBB1_40
; %bb.39:                               ;   in Loop: Header=BB1_10 Depth=3
	v_mov_b32_e32 v9, 3
	global_store_b8 v[3:4], v9, off
.LBB1_40:                               ;   in Loop: Header=BB1_10 Depth=3
	s_wait_alu 0xfffe
	s_or_b32 exec_lo, exec_lo, s84
	global_load_u16 v10, v[5:6], off
	v_mov_b32_e32 v37, v9
	s_wait_loadcnt 0x0
	v_or_b32_e32 v10, 0x4000, v10
	global_store_b16 v[5:6], v10, off
.LBB1_41:                               ;   in Loop: Header=BB1_10 Depth=3
	s_wait_alu 0xfffe
	s_or_b32 exec_lo, exec_lo, s83
	v_add_nc_u32_e32 v9, s70, v36
	s_mov_b32 s83, exec_lo
	s_delay_alu instid0(VALU_DEP_1) | instskip(NEXT) | instid1(VALU_DEP_1)
	v_sub_nc_u32_e32 v10, 0, v9
	v_max_i32_e32 v10, v9, v10
	v_ashrrev_i32_e32 v9, 31, v9
	s_delay_alu instid0(VALU_DEP_2) | instskip(NEXT) | instid1(VALU_DEP_1)
	v_mul_hi_u32 v38, v10, s26
	v_mul_lo_u32 v38, v38, s22
	s_delay_alu instid0(VALU_DEP_1) | instskip(NEXT) | instid1(VALU_DEP_1)
	v_sub_nc_u32_e32 v10, v10, v38
	v_subrev_nc_u32_e32 v38, s22, v10
	v_cmp_le_u32_e64 s1, s22, v10
	s_wait_alu 0xf1ff
	s_delay_alu instid0(VALU_DEP_1) | instskip(NEXT) | instid1(VALU_DEP_1)
	v_cndmask_b32_e64 v10, v10, v38, s1
	v_subrev_nc_u32_e32 v38, s22, v10
	v_cmp_le_u32_e64 s1, s22, v10
	s_wait_alu 0xf1ff
	s_delay_alu instid0(VALU_DEP_1) | instskip(NEXT) | instid1(VALU_DEP_1)
	v_cndmask_b32_e64 v10, v10, v38, s1
	v_xor_b32_e32 v10, v10, v9
	s_delay_alu instid0(VALU_DEP_1) | instskip(NEXT) | instid1(VALU_DEP_1)
	v_sub_nc_u32_e32 v9, v10, v9
	v_add_nc_u32_e32 v38, v23, v9
	s_delay_alu instid0(VALU_DEP_1) | instskip(SKIP_2) | instid1(VALU_DEP_2)
	v_ashrrev_i32_e32 v39, 31, v38
	v_add_co_u32 v9, s1, s4, v38
	s_wait_alu 0xf1ff
	v_add_co_ci_u32_e64 v10, null, s5, v39, s1
	global_load_u8 v40, v[9:10], off
	s_wait_loadcnt 0x0
	v_cmpx_eq_u16_e32 10, v40
	s_cbranch_execz .LBB1_43
; %bb.42:                               ;   in Loop: Header=BB1_10 Depth=3
	v_add_co_u32 v38, s1, s6, v38
	s_wait_alu 0xf1ff
	v_add_co_ci_u32_e64 v39, null, s7, v39, s1
	v_mov_b32_e32 v37, 2
	global_load_u16 v41, v[5:6], off
	global_load_u8 v38, v[38:39], off
	global_store_b8 v[3:4], v37, off
	global_load_u8 v40, v[9:10], off
	s_wait_loadcnt 0x2
	v_or_b32_e32 v9, 0xffff8000, v41
	s_wait_loadcnt 0x1
	global_store_b8 v[7:8], v38, off
	global_store_b16 v[5:6], v9, off
.LBB1_43:                               ;   in Loop: Header=BB1_10 Depth=3
	s_wait_alu 0xfffe
	s_or_b32 exec_lo, exec_lo, s83
	s_wait_loadcnt 0x0
	v_and_b32_e32 v9, 0xff, v40
	s_mov_b32 s83, exec_lo
	s_delay_alu instid0(VALU_DEP_1)
	v_cmpx_eq_u16_e32 4, v9
	s_cbranch_execz .LBB1_47
; %bb.44:                               ;   in Loop: Header=BB1_10 Depth=3
	v_mov_b32_e32 v9, 2
	s_mov_b32 s84, exec_lo
	v_cmpx_ne_u16_e32 2, v37
	s_cbranch_execz .LBB1_46
; %bb.45:                               ;   in Loop: Header=BB1_10 Depth=3
	v_mov_b32_e32 v9, 3
	global_store_b8 v[3:4], v9, off
.LBB1_46:                               ;   in Loop: Header=BB1_10 Depth=3
	s_wait_alu 0xfffe
	s_or_b32 exec_lo, exec_lo, s84
	global_load_u16 v10, v[5:6], off
	v_mov_b32_e32 v37, v9
	s_wait_loadcnt 0x0
	v_or_b32_e32 v10, 0xffff8000, v10
	global_store_b16 v[5:6], v10, off
.LBB1_47:                               ;   in Loop: Header=BB1_10 Depth=3
	s_wait_alu 0xfffe
	s_or_b32 exec_lo, exec_lo, s83
	v_add_nc_u32_e32 v9, s69, v36
	s_mov_b32 s83, exec_lo
	s_delay_alu instid0(VALU_DEP_1) | instskip(NEXT) | instid1(VALU_DEP_1)
	v_sub_nc_u32_e32 v10, 0, v9
	v_max_i32_e32 v10, v9, v10
	v_ashrrev_i32_e32 v9, 31, v9
	s_delay_alu instid0(VALU_DEP_2) | instskip(NEXT) | instid1(VALU_DEP_1)
	v_mul_hi_u32 v38, v10, s26
	v_mul_lo_u32 v38, v38, s22
	s_delay_alu instid0(VALU_DEP_1) | instskip(NEXT) | instid1(VALU_DEP_1)
	v_sub_nc_u32_e32 v10, v10, v38
	v_subrev_nc_u32_e32 v38, s22, v10
	v_cmp_le_u32_e64 s1, s22, v10
	s_wait_alu 0xf1ff
	s_delay_alu instid0(VALU_DEP_1) | instskip(NEXT) | instid1(VALU_DEP_1)
	v_cndmask_b32_e64 v10, v10, v38, s1
	v_subrev_nc_u32_e32 v38, s22, v10
	v_cmp_le_u32_e64 s1, s22, v10
	s_wait_alu 0xf1ff
	s_delay_alu instid0(VALU_DEP_1) | instskip(NEXT) | instid1(VALU_DEP_1)
	v_cndmask_b32_e64 v10, v10, v38, s1
	v_xor_b32_e32 v10, v10, v9
	s_delay_alu instid0(VALU_DEP_1) | instskip(NEXT) | instid1(VALU_DEP_1)
	v_sub_nc_u32_e32 v9, v10, v9
	v_add_nc_u32_e32 v38, v24, v9
	s_delay_alu instid0(VALU_DEP_1) | instskip(SKIP_2) | instid1(VALU_DEP_2)
	v_ashrrev_i32_e32 v39, 31, v38
	v_add_co_u32 v9, s1, s4, v38
	s_wait_alu 0xf1ff
	v_add_co_ci_u32_e64 v10, null, s5, v39, s1
	global_load_u8 v40, v[9:10], off
	s_wait_loadcnt 0x0
	v_cmpx_eq_u16_e32 10, v40
	s_cbranch_execz .LBB1_49
; %bb.48:                               ;   in Loop: Header=BB1_10 Depth=3
	v_add_co_u32 v38, s1, s6, v38
	s_wait_alu 0xf1ff
	v_add_co_ci_u32_e64 v39, null, s7, v39, s1
	v_mov_b32_e32 v37, 2
	global_load_u16 v41, v[5:6], off offset:1
	global_load_u8 v38, v[38:39], off
	global_store_b8 v[3:4], v37, off
	global_load_u8 v40, v[9:10], off
	s_wait_loadcnt 0x2
	v_or_b32_e32 v9, 0x100, v41
	s_wait_loadcnt 0x1
	global_store_b8 v[7:8], v38, off
	global_store_b16 v[5:6], v9, off offset:1
.LBB1_49:                               ;   in Loop: Header=BB1_10 Depth=3
	s_wait_alu 0xfffe
	s_or_b32 exec_lo, exec_lo, s83
	s_wait_loadcnt 0x0
	v_and_b32_e32 v9, 0xff, v40
	s_mov_b32 s83, exec_lo
	s_delay_alu instid0(VALU_DEP_1)
	v_cmpx_eq_u16_e32 4, v9
	s_cbranch_execz .LBB1_53
; %bb.50:                               ;   in Loop: Header=BB1_10 Depth=3
	v_mov_b32_e32 v9, 2
	s_mov_b32 s84, exec_lo
	v_cmpx_ne_u16_e32 2, v37
	s_cbranch_execz .LBB1_52
; %bb.51:                               ;   in Loop: Header=BB1_10 Depth=3
	v_mov_b32_e32 v9, 3
	global_store_b8 v[3:4], v9, off
.LBB1_52:                               ;   in Loop: Header=BB1_10 Depth=3
	s_wait_alu 0xfffe
	s_or_b32 exec_lo, exec_lo, s84
	global_load_u16 v10, v[5:6], off offset:1
	v_mov_b32_e32 v37, v9
	s_wait_loadcnt 0x0
	v_or_b32_e32 v10, 0x100, v10
	global_store_b16 v[5:6], v10, off offset:1
.LBB1_53:                               ;   in Loop: Header=BB1_10 Depth=3
	s_wait_alu 0xfffe
	s_or_b32 exec_lo, exec_lo, s83
	v_add_nc_u32_e32 v9, s68, v36
	s_mov_b32 s83, exec_lo
	s_delay_alu instid0(VALU_DEP_1) | instskip(NEXT) | instid1(VALU_DEP_1)
	v_sub_nc_u32_e32 v10, 0, v9
	v_max_i32_e32 v10, v9, v10
	v_ashrrev_i32_e32 v9, 31, v9
	s_delay_alu instid0(VALU_DEP_2) | instskip(NEXT) | instid1(VALU_DEP_1)
	v_mul_hi_u32 v38, v10, s26
	v_mul_lo_u32 v38, v38, s22
	s_delay_alu instid0(VALU_DEP_1) | instskip(NEXT) | instid1(VALU_DEP_1)
	v_sub_nc_u32_e32 v10, v10, v38
	v_subrev_nc_u32_e32 v38, s22, v10
	v_cmp_le_u32_e64 s1, s22, v10
	s_wait_alu 0xf1ff
	s_delay_alu instid0(VALU_DEP_1) | instskip(NEXT) | instid1(VALU_DEP_1)
	v_cndmask_b32_e64 v10, v10, v38, s1
	v_subrev_nc_u32_e32 v38, s22, v10
	v_cmp_le_u32_e64 s1, s22, v10
	s_wait_alu 0xf1ff
	s_delay_alu instid0(VALU_DEP_1) | instskip(NEXT) | instid1(VALU_DEP_1)
	v_cndmask_b32_e64 v10, v10, v38, s1
	v_xor_b32_e32 v10, v10, v9
	s_delay_alu instid0(VALU_DEP_1) | instskip(NEXT) | instid1(VALU_DEP_1)
	v_sub_nc_u32_e32 v9, v10, v9
	v_add_nc_u32_e32 v38, v25, v9
	s_delay_alu instid0(VALU_DEP_1) | instskip(SKIP_2) | instid1(VALU_DEP_2)
	v_ashrrev_i32_e32 v39, 31, v38
	v_add_co_u32 v9, s1, s4, v38
	s_wait_alu 0xf1ff
	v_add_co_ci_u32_e64 v10, null, s5, v39, s1
	global_load_u8 v40, v[9:10], off
	s_wait_loadcnt 0x0
	v_cmpx_eq_u16_e32 10, v40
	s_cbranch_execz .LBB1_55
; %bb.54:                               ;   in Loop: Header=BB1_10 Depth=3
	v_add_co_u32 v38, s1, s6, v38
	s_wait_alu 0xf1ff
	v_add_co_ci_u32_e64 v39, null, s7, v39, s1
	v_mov_b32_e32 v37, 2
	global_load_u16 v41, v[5:6], off offset:1
	global_load_u8 v38, v[38:39], off
	global_store_b8 v[3:4], v37, off
	global_load_u8 v40, v[9:10], off
	s_wait_loadcnt 0x2
	v_or_b32_e32 v9, 0x200, v41
	s_wait_loadcnt 0x1
	global_store_b8 v[7:8], v38, off
	global_store_b16 v[5:6], v9, off offset:1
.LBB1_55:                               ;   in Loop: Header=BB1_10 Depth=3
	s_wait_alu 0xfffe
	s_or_b32 exec_lo, exec_lo, s83
	s_wait_loadcnt 0x0
	v_and_b32_e32 v9, 0xff, v40
	s_mov_b32 s83, exec_lo
	s_delay_alu instid0(VALU_DEP_1)
	v_cmpx_eq_u16_e32 4, v9
	s_cbranch_execz .LBB1_59
; %bb.56:                               ;   in Loop: Header=BB1_10 Depth=3
	v_mov_b32_e32 v9, 2
	s_mov_b32 s84, exec_lo
	v_cmpx_ne_u16_e32 2, v37
	s_cbranch_execz .LBB1_58
; %bb.57:                               ;   in Loop: Header=BB1_10 Depth=3
	v_mov_b32_e32 v9, 3
	global_store_b8 v[3:4], v9, off
.LBB1_58:                               ;   in Loop: Header=BB1_10 Depth=3
	s_wait_alu 0xfffe
	s_or_b32 exec_lo, exec_lo, s84
	global_load_u16 v10, v[5:6], off offset:1
	v_mov_b32_e32 v37, v9
	s_wait_loadcnt 0x0
	v_or_b32_e32 v10, 0x200, v10
	global_store_b16 v[5:6], v10, off offset:1
.LBB1_59:                               ;   in Loop: Header=BB1_10 Depth=3
	s_wait_alu 0xfffe
	s_or_b32 exec_lo, exec_lo, s83
	v_add_nc_u32_e32 v9, v15, v36
	s_mov_b32 s83, exec_lo
	s_delay_alu instid0(VALU_DEP_1) | instskip(NEXT) | instid1(VALU_DEP_1)
	v_sub_nc_u32_e32 v10, 0, v9
	v_max_i32_e32 v10, v9, v10
	v_ashrrev_i32_e32 v9, 31, v9
	s_delay_alu instid0(VALU_DEP_2) | instskip(NEXT) | instid1(VALU_DEP_1)
	v_mul_hi_u32 v38, v10, s26
	v_mul_lo_u32 v38, v38, s22
	s_delay_alu instid0(VALU_DEP_1) | instskip(NEXT) | instid1(VALU_DEP_1)
	v_sub_nc_u32_e32 v10, v10, v38
	v_subrev_nc_u32_e32 v38, s22, v10
	v_cmp_le_u32_e64 s1, s22, v10
	s_wait_alu 0xf1ff
	s_delay_alu instid0(VALU_DEP_1) | instskip(NEXT) | instid1(VALU_DEP_1)
	v_cndmask_b32_e64 v10, v10, v38, s1
	v_subrev_nc_u32_e32 v38, s22, v10
	v_cmp_le_u32_e64 s1, s22, v10
	s_wait_alu 0xf1ff
	s_delay_alu instid0(VALU_DEP_1) | instskip(NEXT) | instid1(VALU_DEP_1)
	v_cndmask_b32_e64 v10, v10, v38, s1
	v_xor_b32_e32 v10, v10, v9
	s_delay_alu instid0(VALU_DEP_1) | instskip(NEXT) | instid1(VALU_DEP_1)
	v_sub_nc_u32_e32 v9, v10, v9
	v_add_nc_u32_e32 v38, v26, v9
	s_delay_alu instid0(VALU_DEP_1) | instskip(SKIP_2) | instid1(VALU_DEP_2)
	v_ashrrev_i32_e32 v39, 31, v38
	v_add_co_u32 v9, s1, s4, v38
	s_wait_alu 0xf1ff
	v_add_co_ci_u32_e64 v10, null, s5, v39, s1
	global_load_u8 v40, v[9:10], off
	s_wait_loadcnt 0x0
	v_cmpx_eq_u16_e32 10, v40
	s_cbranch_execz .LBB1_61
; %bb.60:                               ;   in Loop: Header=BB1_10 Depth=3
	v_add_co_u32 v38, s1, s6, v38
	s_wait_alu 0xf1ff
	v_add_co_ci_u32_e64 v39, null, s7, v39, s1
	v_mov_b32_e32 v37, 2
	global_load_u16 v41, v[5:6], off offset:1
	global_load_u8 v38, v[38:39], off
	global_store_b8 v[3:4], v37, off
	global_load_u8 v40, v[9:10], off
	s_wait_loadcnt 0x2
	v_or_b32_e32 v9, 0x400, v41
	s_wait_loadcnt 0x1
	global_store_b8 v[7:8], v38, off
	global_store_b16 v[5:6], v9, off offset:1
.LBB1_61:                               ;   in Loop: Header=BB1_10 Depth=3
	s_wait_alu 0xfffe
	s_or_b32 exec_lo, exec_lo, s83
	s_wait_loadcnt 0x0
	v_and_b32_e32 v9, 0xff, v40
	s_mov_b32 s83, exec_lo
	s_delay_alu instid0(VALU_DEP_1)
	v_cmpx_eq_u16_e32 4, v9
	s_cbranch_execz .LBB1_65
; %bb.62:                               ;   in Loop: Header=BB1_10 Depth=3
	v_mov_b32_e32 v9, 2
	s_mov_b32 s84, exec_lo
	v_cmpx_ne_u16_e32 2, v37
	s_cbranch_execz .LBB1_64
; %bb.63:                               ;   in Loop: Header=BB1_10 Depth=3
	v_mov_b32_e32 v9, 3
	global_store_b8 v[3:4], v9, off
.LBB1_64:                               ;   in Loop: Header=BB1_10 Depth=3
	s_wait_alu 0xfffe
	s_or_b32 exec_lo, exec_lo, s84
	global_load_u16 v10, v[5:6], off offset:1
	v_mov_b32_e32 v37, v9
	s_wait_loadcnt 0x0
	v_or_b32_e32 v10, 0x400, v10
	global_store_b16 v[5:6], v10, off offset:1
.LBB1_65:                               ;   in Loop: Header=BB1_10 Depth=3
	s_wait_alu 0xfffe
	s_or_b32 exec_lo, exec_lo, s83
	v_add_nc_u32_e32 v9, v14, v36
	s_mov_b32 s83, exec_lo
	s_delay_alu instid0(VALU_DEP_1) | instskip(NEXT) | instid1(VALU_DEP_1)
	v_sub_nc_u32_e32 v10, 0, v9
	v_max_i32_e32 v10, v9, v10
	v_ashrrev_i32_e32 v9, 31, v9
	s_delay_alu instid0(VALU_DEP_2) | instskip(NEXT) | instid1(VALU_DEP_1)
	v_mul_hi_u32 v38, v10, s26
	v_mul_lo_u32 v38, v38, s22
	s_delay_alu instid0(VALU_DEP_1) | instskip(NEXT) | instid1(VALU_DEP_1)
	v_sub_nc_u32_e32 v10, v10, v38
	v_subrev_nc_u32_e32 v38, s22, v10
	v_cmp_le_u32_e64 s1, s22, v10
	s_wait_alu 0xf1ff
	s_delay_alu instid0(VALU_DEP_1) | instskip(NEXT) | instid1(VALU_DEP_1)
	v_cndmask_b32_e64 v10, v10, v38, s1
	v_subrev_nc_u32_e32 v38, s22, v10
	v_cmp_le_u32_e64 s1, s22, v10
	s_wait_alu 0xf1ff
	s_delay_alu instid0(VALU_DEP_1) | instskip(NEXT) | instid1(VALU_DEP_1)
	v_cndmask_b32_e64 v10, v10, v38, s1
	v_xor_b32_e32 v10, v10, v9
	s_delay_alu instid0(VALU_DEP_1) | instskip(NEXT) | instid1(VALU_DEP_1)
	v_sub_nc_u32_e32 v9, v10, v9
	v_add_nc_u32_e32 v38, v27, v9
	s_delay_alu instid0(VALU_DEP_1) | instskip(SKIP_2) | instid1(VALU_DEP_2)
	v_ashrrev_i32_e32 v39, 31, v38
	v_add_co_u32 v9, s1, s4, v38
	s_wait_alu 0xf1ff
	v_add_co_ci_u32_e64 v10, null, s5, v39, s1
	global_load_u8 v40, v[9:10], off
	s_wait_loadcnt 0x0
	v_cmpx_eq_u16_e32 10, v40
	s_cbranch_execz .LBB1_67
; %bb.66:                               ;   in Loop: Header=BB1_10 Depth=3
	v_add_co_u32 v38, s1, s6, v38
	s_wait_alu 0xf1ff
	v_add_co_ci_u32_e64 v39, null, s7, v39, s1
	v_mov_b32_e32 v37, 2
	global_load_u16 v41, v[5:6], off
	global_load_u8 v38, v[38:39], off
	global_store_b8 v[3:4], v37, off
	global_load_u8 v40, v[9:10], off
	s_wait_loadcnt 0x2
	v_or_b32_e32 v9, 2, v41
	s_wait_loadcnt 0x1
	global_store_b8 v[7:8], v38, off
	global_store_b16 v[5:6], v9, off
.LBB1_67:                               ;   in Loop: Header=BB1_10 Depth=3
	s_wait_alu 0xfffe
	s_or_b32 exec_lo, exec_lo, s83
	s_wait_loadcnt 0x0
	v_and_b32_e32 v9, 0xff, v40
	s_mov_b32 s83, exec_lo
	s_delay_alu instid0(VALU_DEP_1)
	v_cmpx_eq_u16_e32 4, v9
	s_cbranch_execz .LBB1_71
; %bb.68:                               ;   in Loop: Header=BB1_10 Depth=3
	v_mov_b32_e32 v9, 2
	s_mov_b32 s84, exec_lo
	v_cmpx_ne_u16_e32 2, v37
	s_cbranch_execz .LBB1_70
; %bb.69:                               ;   in Loop: Header=BB1_10 Depth=3
	v_mov_b32_e32 v9, 3
	global_store_b8 v[3:4], v9, off
.LBB1_70:                               ;   in Loop: Header=BB1_10 Depth=3
	s_wait_alu 0xfffe
	s_or_b32 exec_lo, exec_lo, s84
	global_load_u16 v10, v[5:6], off
	v_mov_b32_e32 v37, v9
	s_wait_loadcnt 0x0
	v_or_b32_e32 v10, 2, v10
	global_store_b16 v[5:6], v10, off
.LBB1_71:                               ;   in Loop: Header=BB1_10 Depth=3
	s_wait_alu 0xfffe
	s_or_b32 exec_lo, exec_lo, s83
	v_add_nc_u32_e32 v9, s24, v36
	s_mov_b32 s83, exec_lo
	s_delay_alu instid0(VALU_DEP_1) | instskip(NEXT) | instid1(VALU_DEP_1)
	v_sub_nc_u32_e32 v10, 0, v9
	v_max_i32_e32 v10, v9, v10
	v_ashrrev_i32_e32 v9, 31, v9
	s_delay_alu instid0(VALU_DEP_2) | instskip(NEXT) | instid1(VALU_DEP_1)
	v_mul_hi_u32 v38, v10, s26
	v_mul_lo_u32 v38, v38, s22
	s_delay_alu instid0(VALU_DEP_1) | instskip(NEXT) | instid1(VALU_DEP_1)
	v_sub_nc_u32_e32 v10, v10, v38
	v_subrev_nc_u32_e32 v38, s22, v10
	v_cmp_le_u32_e64 s1, s22, v10
	s_wait_alu 0xf1ff
	s_delay_alu instid0(VALU_DEP_1) | instskip(NEXT) | instid1(VALU_DEP_1)
	v_cndmask_b32_e64 v10, v10, v38, s1
	v_subrev_nc_u32_e32 v38, s22, v10
	v_cmp_le_u32_e64 s1, s22, v10
	s_wait_alu 0xf1ff
	s_delay_alu instid0(VALU_DEP_1) | instskip(NEXT) | instid1(VALU_DEP_1)
	v_cndmask_b32_e64 v10, v10, v38, s1
	v_xor_b32_e32 v10, v10, v9
	s_delay_alu instid0(VALU_DEP_1) | instskip(NEXT) | instid1(VALU_DEP_1)
	v_sub_nc_u32_e32 v9, v10, v9
	v_add_nc_u32_e32 v38, v28, v9
	s_delay_alu instid0(VALU_DEP_1) | instskip(SKIP_2) | instid1(VALU_DEP_2)
	v_ashrrev_i32_e32 v39, 31, v38
	v_add_co_u32 v9, s1, s4, v38
	s_wait_alu 0xf1ff
	v_add_co_ci_u32_e64 v10, null, s5, v39, s1
	global_load_u8 v40, v[9:10], off
	s_wait_loadcnt 0x0
	v_cmpx_eq_u16_e32 10, v40
	s_cbranch_execz .LBB1_73
; %bb.72:                               ;   in Loop: Header=BB1_10 Depth=3
	v_add_co_u32 v38, s1, s6, v38
	s_wait_alu 0xf1ff
	v_add_co_ci_u32_e64 v39, null, s7, v39, s1
	v_mov_b32_e32 v37, 2
	global_load_u16 v41, v[5:6], off
	global_load_u8 v38, v[38:39], off
	global_store_b8 v[3:4], v37, off
	global_load_u8 v40, v[9:10], off
	s_wait_loadcnt 0x2
	v_or_b32_e32 v9, 4, v41
	s_wait_loadcnt 0x1
	global_store_b8 v[7:8], v38, off
	global_store_b16 v[5:6], v9, off
.LBB1_73:                               ;   in Loop: Header=BB1_10 Depth=3
	s_wait_alu 0xfffe
	s_or_b32 exec_lo, exec_lo, s83
	s_wait_loadcnt 0x0
	v_and_b32_e32 v9, 0xff, v40
	s_mov_b32 s83, exec_lo
	s_delay_alu instid0(VALU_DEP_1)
	v_cmpx_eq_u16_e32 4, v9
	s_cbranch_execz .LBB1_77
; %bb.74:                               ;   in Loop: Header=BB1_10 Depth=3
	v_mov_b32_e32 v9, 2
	s_mov_b32 s84, exec_lo
	v_cmpx_ne_u16_e32 2, v37
	s_cbranch_execz .LBB1_76
; %bb.75:                               ;   in Loop: Header=BB1_10 Depth=3
	v_mov_b32_e32 v9, 3
	global_store_b8 v[3:4], v9, off
.LBB1_76:                               ;   in Loop: Header=BB1_10 Depth=3
	s_wait_alu 0xfffe
	s_or_b32 exec_lo, exec_lo, s84
	global_load_u16 v10, v[5:6], off
	v_mov_b32_e32 v37, v9
	s_wait_loadcnt 0x0
	v_or_b32_e32 v10, 4, v10
	global_store_b16 v[5:6], v10, off
.LBB1_77:                               ;   in Loop: Header=BB1_10 Depth=3
	s_wait_alu 0xfffe
	s_or_b32 exec_lo, exec_lo, s83
	v_add_nc_u32_e32 v9, s67, v36
	s_mov_b32 s83, exec_lo
	s_delay_alu instid0(VALU_DEP_1) | instskip(NEXT) | instid1(VALU_DEP_1)
	v_sub_nc_u32_e32 v10, 0, v9
	v_max_i32_e32 v10, v9, v10
	v_ashrrev_i32_e32 v9, 31, v9
	s_delay_alu instid0(VALU_DEP_2) | instskip(NEXT) | instid1(VALU_DEP_1)
	v_mul_hi_u32 v38, v10, s26
	v_mul_lo_u32 v38, v38, s22
	s_delay_alu instid0(VALU_DEP_1) | instskip(NEXT) | instid1(VALU_DEP_1)
	v_sub_nc_u32_e32 v10, v10, v38
	v_subrev_nc_u32_e32 v38, s22, v10
	v_cmp_le_u32_e64 s1, s22, v10
	s_wait_alu 0xf1ff
	s_delay_alu instid0(VALU_DEP_1) | instskip(NEXT) | instid1(VALU_DEP_1)
	v_cndmask_b32_e64 v10, v10, v38, s1
	v_subrev_nc_u32_e32 v38, s22, v10
	v_cmp_le_u32_e64 s1, s22, v10
	s_wait_alu 0xf1ff
	s_delay_alu instid0(VALU_DEP_1) | instskip(NEXT) | instid1(VALU_DEP_1)
	v_cndmask_b32_e64 v10, v10, v38, s1
	v_xor_b32_e32 v10, v10, v9
	s_delay_alu instid0(VALU_DEP_1) | instskip(NEXT) | instid1(VALU_DEP_1)
	v_sub_nc_u32_e32 v9, v10, v9
	v_add_nc_u32_e32 v38, v29, v9
	s_delay_alu instid0(VALU_DEP_1) | instskip(SKIP_2) | instid1(VALU_DEP_2)
	v_ashrrev_i32_e32 v39, 31, v38
	v_add_co_u32 v9, s1, s4, v38
	s_wait_alu 0xf1ff
	v_add_co_ci_u32_e64 v10, null, s5, v39, s1
	global_load_u8 v40, v[9:10], off
	s_wait_loadcnt 0x0
	v_cmpx_eq_u16_e32 10, v40
	s_cbranch_execz .LBB1_79
; %bb.78:                               ;   in Loop: Header=BB1_10 Depth=3
	v_add_co_u32 v38, s1, s6, v38
	s_wait_alu 0xf1ff
	v_add_co_ci_u32_e64 v39, null, s7, v39, s1
	v_mov_b32_e32 v37, 2
	global_load_u16 v41, v[5:6], off
	global_load_u8 v38, v[38:39], off
	global_store_b8 v[3:4], v37, off
	global_load_u8 v40, v[9:10], off
	s_wait_loadcnt 0x2
	v_or_b32_e32 v9, 8, v41
	s_wait_loadcnt 0x1
	global_store_b8 v[7:8], v38, off
	global_store_b16 v[5:6], v9, off
.LBB1_79:                               ;   in Loop: Header=BB1_10 Depth=3
	s_wait_alu 0xfffe
	s_or_b32 exec_lo, exec_lo, s83
	s_wait_loadcnt 0x0
	v_and_b32_e32 v9, 0xff, v40
	s_mov_b32 s83, exec_lo
	s_delay_alu instid0(VALU_DEP_1)
	v_cmpx_eq_u16_e32 4, v9
	s_cbranch_execz .LBB1_83
; %bb.80:                               ;   in Loop: Header=BB1_10 Depth=3
	v_mov_b32_e32 v9, 2
	s_mov_b32 s84, exec_lo
	v_cmpx_ne_u16_e32 2, v37
	s_cbranch_execz .LBB1_82
; %bb.81:                               ;   in Loop: Header=BB1_10 Depth=3
	v_mov_b32_e32 v9, 3
	global_store_b8 v[3:4], v9, off
.LBB1_82:                               ;   in Loop: Header=BB1_10 Depth=3
	s_wait_alu 0xfffe
	s_or_b32 exec_lo, exec_lo, s84
	global_load_u16 v10, v[5:6], off
	v_mov_b32_e32 v37, v9
	s_wait_loadcnt 0x0
	v_or_b32_e32 v10, 8, v10
	global_store_b16 v[5:6], v10, off
.LBB1_83:                               ;   in Loop: Header=BB1_10 Depth=3
	s_wait_alu 0xfffe
	s_or_b32 exec_lo, exec_lo, s83
	v_add_nc_u32_e32 v9, s66, v36
	s_mov_b32 s83, exec_lo
	s_delay_alu instid0(VALU_DEP_1) | instskip(NEXT) | instid1(VALU_DEP_1)
	v_sub_nc_u32_e32 v10, 0, v9
	v_max_i32_e32 v10, v9, v10
	v_ashrrev_i32_e32 v9, 31, v9
	s_delay_alu instid0(VALU_DEP_2) | instskip(NEXT) | instid1(VALU_DEP_1)
	v_mul_hi_u32 v38, v10, s26
	v_mul_lo_u32 v38, v38, s22
	s_delay_alu instid0(VALU_DEP_1) | instskip(NEXT) | instid1(VALU_DEP_1)
	v_sub_nc_u32_e32 v10, v10, v38
	v_subrev_nc_u32_e32 v38, s22, v10
	v_cmp_le_u32_e64 s1, s22, v10
	s_wait_alu 0xf1ff
	s_delay_alu instid0(VALU_DEP_1) | instskip(NEXT) | instid1(VALU_DEP_1)
	v_cndmask_b32_e64 v10, v10, v38, s1
	v_subrev_nc_u32_e32 v38, s22, v10
	v_cmp_le_u32_e64 s1, s22, v10
	s_wait_alu 0xf1ff
	s_delay_alu instid0(VALU_DEP_1) | instskip(NEXT) | instid1(VALU_DEP_1)
	v_cndmask_b32_e64 v10, v10, v38, s1
	v_xor_b32_e32 v10, v10, v9
	s_delay_alu instid0(VALU_DEP_1) | instskip(NEXT) | instid1(VALU_DEP_1)
	v_sub_nc_u32_e32 v9, v10, v9
	v_add_nc_u32_e32 v38, v30, v9
	s_delay_alu instid0(VALU_DEP_1) | instskip(SKIP_2) | instid1(VALU_DEP_2)
	v_ashrrev_i32_e32 v39, 31, v38
	v_add_co_u32 v9, s1, s4, v38
	s_wait_alu 0xf1ff
	v_add_co_ci_u32_e64 v10, null, s5, v39, s1
	global_load_u8 v40, v[9:10], off
	s_wait_loadcnt 0x0
	v_cmpx_eq_u16_e32 10, v40
	s_cbranch_execz .LBB1_85
; %bb.84:                               ;   in Loop: Header=BB1_10 Depth=3
	v_add_co_u32 v38, s1, s6, v38
	s_wait_alu 0xf1ff
	v_add_co_ci_u32_e64 v39, null, s7, v39, s1
	v_mov_b32_e32 v37, 2
	global_load_u16 v41, v[5:6], off
	global_load_u8 v38, v[38:39], off
	global_store_b8 v[3:4], v37, off
	global_load_u8 v40, v[9:10], off
	s_wait_loadcnt 0x2
	v_or_b32_e32 v9, 16, v41
	s_wait_loadcnt 0x1
	global_store_b8 v[7:8], v38, off
	global_store_b16 v[5:6], v9, off
.LBB1_85:                               ;   in Loop: Header=BB1_10 Depth=3
	s_wait_alu 0xfffe
	s_or_b32 exec_lo, exec_lo, s83
	s_wait_loadcnt 0x0
	v_and_b32_e32 v9, 0xff, v40
	s_mov_b32 s83, exec_lo
	s_delay_alu instid0(VALU_DEP_1)
	v_cmpx_eq_u16_e32 4, v9
	s_cbranch_execz .LBB1_89
; %bb.86:                               ;   in Loop: Header=BB1_10 Depth=3
	v_mov_b32_e32 v9, 2
	s_mov_b32 s84, exec_lo
	v_cmpx_ne_u16_e32 2, v37
	s_cbranch_execz .LBB1_88
; %bb.87:                               ;   in Loop: Header=BB1_10 Depth=3
	v_mov_b32_e32 v9, 3
	global_store_b8 v[3:4], v9, off
.LBB1_88:                               ;   in Loop: Header=BB1_10 Depth=3
	s_wait_alu 0xfffe
	s_or_b32 exec_lo, exec_lo, s84
	global_load_u16 v10, v[5:6], off
	v_mov_b32_e32 v37, v9
	s_wait_loadcnt 0x0
	v_or_b32_e32 v10, 16, v10
	global_store_b16 v[5:6], v10, off
.LBB1_89:                               ;   in Loop: Header=BB1_10 Depth=3
	s_wait_alu 0xfffe
	s_or_b32 exec_lo, exec_lo, s83
	v_add_nc_u32_e32 v9, v13, v36
	s_mov_b32 s83, exec_lo
	s_delay_alu instid0(VALU_DEP_1) | instskip(NEXT) | instid1(VALU_DEP_1)
	v_sub_nc_u32_e32 v10, 0, v9
	v_max_i32_e32 v10, v9, v10
	v_ashrrev_i32_e32 v9, 31, v9
	s_delay_alu instid0(VALU_DEP_2) | instskip(NEXT) | instid1(VALU_DEP_1)
	v_mul_hi_u32 v38, v10, s26
	v_mul_lo_u32 v38, v38, s22
	s_delay_alu instid0(VALU_DEP_1) | instskip(NEXT) | instid1(VALU_DEP_1)
	v_sub_nc_u32_e32 v10, v10, v38
	v_subrev_nc_u32_e32 v38, s22, v10
	v_cmp_le_u32_e64 s1, s22, v10
	s_wait_alu 0xf1ff
	s_delay_alu instid0(VALU_DEP_1) | instskip(NEXT) | instid1(VALU_DEP_1)
	v_cndmask_b32_e64 v10, v10, v38, s1
	v_subrev_nc_u32_e32 v38, s22, v10
	v_cmp_le_u32_e64 s1, s22, v10
	s_wait_alu 0xf1ff
	s_delay_alu instid0(VALU_DEP_1) | instskip(NEXT) | instid1(VALU_DEP_1)
	v_cndmask_b32_e64 v10, v10, v38, s1
	v_xor_b32_e32 v10, v10, v9
	s_delay_alu instid0(VALU_DEP_1) | instskip(NEXT) | instid1(VALU_DEP_1)
	v_sub_nc_u32_e32 v9, v10, v9
	v_add_nc_u32_e32 v38, v31, v9
	s_delay_alu instid0(VALU_DEP_1) | instskip(SKIP_2) | instid1(VALU_DEP_2)
	v_ashrrev_i32_e32 v39, 31, v38
	v_add_co_u32 v9, s1, s4, v38
	s_wait_alu 0xf1ff
	v_add_co_ci_u32_e64 v10, null, s5, v39, s1
	global_load_u8 v40, v[9:10], off
	s_wait_loadcnt 0x0
	v_cmpx_eq_u16_e32 10, v40
	s_cbranch_execz .LBB1_91
; %bb.90:                               ;   in Loop: Header=BB1_10 Depth=3
	v_add_co_u32 v38, s1, s6, v38
	s_wait_alu 0xf1ff
	v_add_co_ci_u32_e64 v39, null, s7, v39, s1
	v_mov_b32_e32 v37, 2
	global_load_u16 v41, v[5:6], off
	global_load_u8 v38, v[38:39], off
	global_store_b8 v[3:4], v37, off
	global_load_u8 v40, v[9:10], off
	s_wait_loadcnt 0x2
	v_or_b32_e32 v9, 32, v41
	s_wait_loadcnt 0x1
	global_store_b8 v[7:8], v38, off
	global_store_b16 v[5:6], v9, off
.LBB1_91:                               ;   in Loop: Header=BB1_10 Depth=3
	s_wait_alu 0xfffe
	s_or_b32 exec_lo, exec_lo, s83
	s_wait_loadcnt 0x0
	v_and_b32_e32 v9, 0xff, v40
	s_mov_b32 s83, exec_lo
	s_delay_alu instid0(VALU_DEP_1)
	v_cmpx_eq_u16_e32 4, v9
	s_cbranch_execz .LBB1_95
; %bb.92:                               ;   in Loop: Header=BB1_10 Depth=3
	v_mov_b32_e32 v9, 2
	s_mov_b32 s84, exec_lo
	v_cmpx_ne_u16_e32 2, v37
	s_cbranch_execz .LBB1_94
; %bb.93:                               ;   in Loop: Header=BB1_10 Depth=3
	v_mov_b32_e32 v9, 3
	global_store_b8 v[3:4], v9, off
.LBB1_94:                               ;   in Loop: Header=BB1_10 Depth=3
	s_wait_alu 0xfffe
	s_or_b32 exec_lo, exec_lo, s84
	global_load_u16 v10, v[5:6], off
	v_mov_b32_e32 v37, v9
	s_wait_loadcnt 0x0
	v_or_b32_e32 v10, 32, v10
	global_store_b16 v[5:6], v10, off
.LBB1_95:                               ;   in Loop: Header=BB1_10 Depth=3
	s_wait_alu 0xfffe
	s_or_b32 exec_lo, exec_lo, s83
	v_add_nc_u32_e32 v9, v12, v36
	s_mov_b32 s83, exec_lo
	s_delay_alu instid0(VALU_DEP_1) | instskip(NEXT) | instid1(VALU_DEP_1)
	v_sub_nc_u32_e32 v10, 0, v9
	v_max_i32_e32 v10, v9, v10
	v_ashrrev_i32_e32 v9, 31, v9
	s_delay_alu instid0(VALU_DEP_2) | instskip(NEXT) | instid1(VALU_DEP_1)
	v_mul_hi_u32 v38, v10, s26
	v_mul_lo_u32 v38, v38, s22
	s_delay_alu instid0(VALU_DEP_1) | instskip(NEXT) | instid1(VALU_DEP_1)
	v_sub_nc_u32_e32 v10, v10, v38
	v_subrev_nc_u32_e32 v38, s22, v10
	v_cmp_le_u32_e64 s1, s22, v10
	s_wait_alu 0xf1ff
	s_delay_alu instid0(VALU_DEP_1) | instskip(NEXT) | instid1(VALU_DEP_1)
	v_cndmask_b32_e64 v10, v10, v38, s1
	v_subrev_nc_u32_e32 v38, s22, v10
	v_cmp_le_u32_e64 s1, s22, v10
	s_wait_alu 0xf1ff
	s_delay_alu instid0(VALU_DEP_1) | instskip(NEXT) | instid1(VALU_DEP_1)
	v_cndmask_b32_e64 v10, v10, v38, s1
	v_xor_b32_e32 v10, v10, v9
	s_delay_alu instid0(VALU_DEP_1) | instskip(NEXT) | instid1(VALU_DEP_1)
	v_sub_nc_u32_e32 v9, v10, v9
	v_add_nc_u32_e32 v38, v32, v9
	s_delay_alu instid0(VALU_DEP_1) | instskip(SKIP_2) | instid1(VALU_DEP_2)
	v_ashrrev_i32_e32 v39, 31, v38
	v_add_co_u32 v9, s1, s4, v38
	s_wait_alu 0xf1ff
	v_add_co_ci_u32_e64 v10, null, s5, v39, s1
	global_load_u8 v40, v[9:10], off
	s_wait_loadcnt 0x0
	v_cmpx_eq_u16_e32 10, v40
	s_cbranch_execz .LBB1_97
; %bb.96:                               ;   in Loop: Header=BB1_10 Depth=3
	v_add_co_u32 v38, s1, s6, v38
	s_wait_alu 0xf1ff
	v_add_co_ci_u32_e64 v39, null, s7, v39, s1
	v_mov_b32_e32 v37, 2
	global_load_u16 v41, v[5:6], off
	global_load_u8 v38, v[38:39], off
	global_store_b8 v[3:4], v37, off
	global_load_u8 v40, v[9:10], off
	s_wait_loadcnt 0x2
	v_or_b32_e32 v9, 64, v41
	s_wait_loadcnt 0x1
	global_store_b8 v[7:8], v38, off
	global_store_b16 v[5:6], v9, off
.LBB1_97:                               ;   in Loop: Header=BB1_10 Depth=3
	s_wait_alu 0xfffe
	s_or_b32 exec_lo, exec_lo, s83
	s_wait_loadcnt 0x0
	v_and_b32_e32 v9, 0xff, v40
	s_mov_b32 s83, exec_lo
	s_delay_alu instid0(VALU_DEP_1)
	v_cmpx_eq_u16_e32 4, v9
	s_cbranch_execz .LBB1_101
; %bb.98:                               ;   in Loop: Header=BB1_10 Depth=3
	v_mov_b32_e32 v9, 2
	s_mov_b32 s84, exec_lo
	v_cmpx_ne_u16_e32 2, v37
	s_cbranch_execz .LBB1_100
; %bb.99:                               ;   in Loop: Header=BB1_10 Depth=3
	v_mov_b32_e32 v9, 3
	global_store_b8 v[3:4], v9, off
.LBB1_100:                              ;   in Loop: Header=BB1_10 Depth=3
	s_wait_alu 0xfffe
	s_or_b32 exec_lo, exec_lo, s84
	global_load_u16 v10, v[5:6], off
	v_mov_b32_e32 v37, v9
	s_wait_loadcnt 0x0
	v_or_b32_e32 v10, 64, v10
	global_store_b16 v[5:6], v10, off
.LBB1_101:                              ;   in Loop: Header=BB1_10 Depth=3
	s_wait_alu 0xfffe
	s_or_b32 exec_lo, exec_lo, s83
	v_add_nc_u32_e32 v9, s23, v36
	s_mov_b32 s83, exec_lo
	s_delay_alu instid0(VALU_DEP_1) | instskip(NEXT) | instid1(VALU_DEP_1)
	v_sub_nc_u32_e32 v10, 0, v9
	v_max_i32_e32 v10, v9, v10
	v_ashrrev_i32_e32 v9, 31, v9
	s_delay_alu instid0(VALU_DEP_2) | instskip(NEXT) | instid1(VALU_DEP_1)
	v_mul_hi_u32 v38, v10, s26
	v_mul_lo_u32 v38, v38, s22
	s_delay_alu instid0(VALU_DEP_1) | instskip(NEXT) | instid1(VALU_DEP_1)
	v_sub_nc_u32_e32 v10, v10, v38
	v_subrev_nc_u32_e32 v38, s22, v10
	v_cmp_le_u32_e64 s1, s22, v10
	s_wait_alu 0xf1ff
	s_delay_alu instid0(VALU_DEP_1) | instskip(NEXT) | instid1(VALU_DEP_1)
	v_cndmask_b32_e64 v10, v10, v38, s1
	v_subrev_nc_u32_e32 v38, s22, v10
	v_cmp_le_u32_e64 s1, s22, v10
	s_wait_alu 0xf1ff
	s_delay_alu instid0(VALU_DEP_1) | instskip(NEXT) | instid1(VALU_DEP_1)
	v_cndmask_b32_e64 v10, v10, v38, s1
	v_xor_b32_e32 v10, v10, v9
	s_delay_alu instid0(VALU_DEP_1) | instskip(NEXT) | instid1(VALU_DEP_1)
	v_sub_nc_u32_e32 v9, v10, v9
	v_add_nc_u32_e32 v38, v33, v9
	s_delay_alu instid0(VALU_DEP_1) | instskip(SKIP_2) | instid1(VALU_DEP_2)
	v_ashrrev_i32_e32 v39, 31, v38
	v_add_co_u32 v9, s1, s4, v38
	s_wait_alu 0xf1ff
	v_add_co_ci_u32_e64 v10, null, s5, v39, s1
	global_load_u8 v40, v[9:10], off
	s_wait_loadcnt 0x0
	v_cmpx_eq_u16_e32 10, v40
	s_cbranch_execz .LBB1_103
; %bb.102:                              ;   in Loop: Header=BB1_10 Depth=3
	v_add_co_u32 v38, s1, s6, v38
	s_wait_alu 0xf1ff
	v_add_co_ci_u32_e64 v39, null, s7, v39, s1
	v_mov_b32_e32 v37, 2
	global_load_u16 v41, v[5:6], off
	global_load_u8 v38, v[38:39], off
	global_store_b8 v[3:4], v37, off
	global_load_u8 v40, v[9:10], off
	s_wait_loadcnt 0x2
	v_or_b32_e32 v9, 0x80, v41
	s_wait_loadcnt 0x1
	global_store_b8 v[7:8], v38, off
	global_store_b16 v[5:6], v9, off
.LBB1_103:                              ;   in Loop: Header=BB1_10 Depth=3
	s_wait_alu 0xfffe
	s_or_b32 exec_lo, exec_lo, s83
	s_wait_loadcnt 0x0
	v_and_b32_e32 v9, 0xff, v40
	s_mov_b32 s83, exec_lo
	s_delay_alu instid0(VALU_DEP_1)
	v_cmpx_eq_u16_e32 4, v9
	s_cbranch_execz .LBB1_107
; %bb.104:                              ;   in Loop: Header=BB1_10 Depth=3
	v_mov_b32_e32 v9, 2
	s_mov_b32 s84, exec_lo
	v_cmpx_ne_u16_e32 2, v37
	s_cbranch_execz .LBB1_106
; %bb.105:                              ;   in Loop: Header=BB1_10 Depth=3
	v_mov_b32_e32 v9, 3
	global_store_b8 v[3:4], v9, off
.LBB1_106:                              ;   in Loop: Header=BB1_10 Depth=3
	s_wait_alu 0xfffe
	s_or_b32 exec_lo, exec_lo, s84
	global_load_u16 v10, v[5:6], off
	v_mov_b32_e32 v37, v9
	s_wait_loadcnt 0x0
	v_or_b32_e32 v10, 0x80, v10
	global_store_b16 v[5:6], v10, off
.LBB1_107:                              ;   in Loop: Header=BB1_10 Depth=3
	s_wait_alu 0xfffe
	s_or_b32 exec_lo, exec_lo, s83
	v_add_nc_u32_e32 v9, s65, v36
	s_mov_b32 s83, exec_lo
	s_delay_alu instid0(VALU_DEP_1) | instskip(NEXT) | instid1(VALU_DEP_1)
	v_sub_nc_u32_e32 v10, 0, v9
	v_max_i32_e32 v10, v9, v10
	v_ashrrev_i32_e32 v9, 31, v9
	s_delay_alu instid0(VALU_DEP_2) | instskip(NEXT) | instid1(VALU_DEP_1)
	v_mul_hi_u32 v38, v10, s26
	v_mul_lo_u32 v38, v38, s22
	s_delay_alu instid0(VALU_DEP_1) | instskip(NEXT) | instid1(VALU_DEP_1)
	v_sub_nc_u32_e32 v10, v10, v38
	v_subrev_nc_u32_e32 v38, s22, v10
	v_cmp_le_u32_e64 s1, s22, v10
	s_wait_alu 0xf1ff
	s_delay_alu instid0(VALU_DEP_1) | instskip(NEXT) | instid1(VALU_DEP_1)
	v_cndmask_b32_e64 v10, v10, v38, s1
	v_subrev_nc_u32_e32 v38, s22, v10
	v_cmp_le_u32_e64 s1, s22, v10
	s_wait_alu 0xf1ff
	s_delay_alu instid0(VALU_DEP_1) | instskip(NEXT) | instid1(VALU_DEP_1)
	v_cndmask_b32_e64 v10, v10, v38, s1
	v_xor_b32_e32 v10, v10, v9
	s_delay_alu instid0(VALU_DEP_1) | instskip(NEXT) | instid1(VALU_DEP_1)
	v_sub_nc_u32_e32 v9, v10, v9
	v_add_nc_u32_e32 v38, v34, v9
	s_delay_alu instid0(VALU_DEP_1) | instskip(SKIP_2) | instid1(VALU_DEP_2)
	v_ashrrev_i32_e32 v39, 31, v38
	v_add_co_u32 v9, s1, s4, v38
	s_wait_alu 0xf1ff
	v_add_co_ci_u32_e64 v10, null, s5, v39, s1
	global_load_u8 v40, v[9:10], off
	s_wait_loadcnt 0x0
	v_cmpx_eq_u16_e32 10, v40
	s_cbranch_execz .LBB1_109
; %bb.108:                              ;   in Loop: Header=BB1_10 Depth=3
	v_add_co_u32 v38, s1, s6, v38
	s_wait_alu 0xf1ff
	v_add_co_ci_u32_e64 v39, null, s7, v39, s1
	v_mov_b32_e32 v37, 2
	global_load_u16 v41, v[5:6], off
	global_load_u8 v38, v[38:39], off
	global_store_b8 v[3:4], v37, off
	global_load_u8 v40, v[9:10], off
	s_wait_loadcnt 0x2
	v_or_b32_e32 v9, 0x100, v41
	s_wait_loadcnt 0x1
	global_store_b8 v[7:8], v38, off
	global_store_b16 v[5:6], v9, off
.LBB1_109:                              ;   in Loop: Header=BB1_10 Depth=3
	s_wait_alu 0xfffe
	s_or_b32 exec_lo, exec_lo, s83
	s_wait_loadcnt 0x0
	v_and_b32_e32 v9, 0xff, v40
	s_mov_b32 s83, exec_lo
	s_delay_alu instid0(VALU_DEP_1)
	v_cmpx_eq_u16_e32 4, v9
	s_cbranch_execz .LBB1_113
; %bb.110:                              ;   in Loop: Header=BB1_10 Depth=3
	v_mov_b32_e32 v9, 2
	s_mov_b32 s84, exec_lo
	v_cmpx_ne_u16_e32 2, v37
	s_cbranch_execz .LBB1_112
; %bb.111:                              ;   in Loop: Header=BB1_10 Depth=3
	v_mov_b32_e32 v9, 3
	global_store_b8 v[3:4], v9, off
.LBB1_112:                              ;   in Loop: Header=BB1_10 Depth=3
	s_wait_alu 0xfffe
	s_or_b32 exec_lo, exec_lo, s84
	global_load_u16 v10, v[5:6], off
	v_mov_b32_e32 v37, v9
	s_wait_loadcnt 0x0
	v_or_b32_e32 v10, 0x100, v10
	global_store_b16 v[5:6], v10, off
.LBB1_113:                              ;   in Loop: Header=BB1_10 Depth=3
	s_wait_alu 0xfffe
	s_or_b32 exec_lo, exec_lo, s83
	v_add_nc_u32_e32 v9, s64, v36
	s_mov_b32 s83, exec_lo
	s_delay_alu instid0(VALU_DEP_1) | instskip(NEXT) | instid1(VALU_DEP_1)
	v_sub_nc_u32_e32 v10, 0, v9
	v_max_i32_e32 v10, v9, v10
	v_ashrrev_i32_e32 v9, 31, v9
	s_delay_alu instid0(VALU_DEP_2) | instskip(NEXT) | instid1(VALU_DEP_1)
	v_mul_hi_u32 v38, v10, s26
	v_mul_lo_u32 v38, v38, s22
	s_delay_alu instid0(VALU_DEP_1) | instskip(NEXT) | instid1(VALU_DEP_1)
	v_sub_nc_u32_e32 v10, v10, v38
	v_subrev_nc_u32_e32 v38, s22, v10
	v_cmp_le_u32_e64 s1, s22, v10
	s_wait_alu 0xf1ff
	s_delay_alu instid0(VALU_DEP_1) | instskip(NEXT) | instid1(VALU_DEP_1)
	v_cndmask_b32_e64 v10, v10, v38, s1
	v_subrev_nc_u32_e32 v38, s22, v10
	v_cmp_le_u32_e64 s1, s22, v10
	s_wait_alu 0xf1ff
	s_delay_alu instid0(VALU_DEP_1) | instskip(NEXT) | instid1(VALU_DEP_1)
	v_cndmask_b32_e64 v10, v10, v38, s1
	v_xor_b32_e32 v10, v10, v9
	s_delay_alu instid0(VALU_DEP_1) | instskip(NEXT) | instid1(VALU_DEP_1)
	v_sub_nc_u32_e32 v9, v10, v9
	v_add_nc_u32_e32 v38, v35, v9
	s_delay_alu instid0(VALU_DEP_1) | instskip(SKIP_2) | instid1(VALU_DEP_2)
	v_ashrrev_i32_e32 v39, 31, v38
	v_add_co_u32 v9, s1, s4, v38
	s_wait_alu 0xf1ff
	v_add_co_ci_u32_e64 v10, null, s5, v39, s1
	global_load_u8 v40, v[9:10], off
	s_wait_loadcnt 0x0
	v_cmpx_eq_u16_e32 10, v40
	s_cbranch_execz .LBB1_115
; %bb.114:                              ;   in Loop: Header=BB1_10 Depth=3
	v_add_co_u32 v38, s1, s6, v38
	s_wait_alu 0xf1ff
	v_add_co_ci_u32_e64 v39, null, s7, v39, s1
	v_mov_b32_e32 v37, 2
	global_load_u16 v41, v[5:6], off
	global_load_u8 v38, v[38:39], off
	global_store_b8 v[3:4], v37, off
	global_load_u8 v40, v[9:10], off
	s_wait_loadcnt 0x2
	v_or_b32_e32 v9, 0x200, v41
	s_wait_loadcnt 0x1
	global_store_b8 v[7:8], v38, off
	global_store_b16 v[5:6], v9, off
.LBB1_115:                              ;   in Loop: Header=BB1_10 Depth=3
	s_wait_alu 0xfffe
	s_or_b32 exec_lo, exec_lo, s83
	s_wait_loadcnt 0x0
	v_and_b32_e32 v7, 0xff, v40
	s_delay_alu instid0(VALU_DEP_1)
	v_cmp_eq_u16_e64 s1, 4, v7
	s_and_b32 exec_lo, exec_lo, s1
	s_cbranch_execz .LBB1_9
; %bb.116:                              ;   in Loop: Header=BB1_10 Depth=3
	s_mov_b32 s83, exec_lo
	v_cmpx_ne_u16_e32 2, v37
	s_cbranch_execz .LBB1_8
; %bb.117:                              ;   in Loop: Header=BB1_10 Depth=3
	global_store_b8 v[3:4], v11, off
	s_branch .LBB1_8
.LBB1_118:
	s_endpgm
	.section	.rodata,"a",@progbits
	.p2align	6, 0x0
	.amdhsa_kernel _Z9find_wallILi19EEvPcS0_Pi5BoxCUi
		.amdhsa_group_segment_fixed_size 0
		.amdhsa_private_segment_fixed_size 0
		.amdhsa_kernarg_size 312
		.amdhsa_user_sgpr_count 2
		.amdhsa_user_sgpr_dispatch_ptr 0
		.amdhsa_user_sgpr_queue_ptr 0
		.amdhsa_user_sgpr_kernarg_segment_ptr 1
		.amdhsa_user_sgpr_dispatch_id 0
		.amdhsa_user_sgpr_private_segment_size 0
		.amdhsa_wavefront_size32 1
		.amdhsa_uses_dynamic_stack 0
		.amdhsa_enable_private_segment 0
		.amdhsa_system_sgpr_workgroup_id_x 1
		.amdhsa_system_sgpr_workgroup_id_y 1
		.amdhsa_system_sgpr_workgroup_id_z 1
		.amdhsa_system_sgpr_workgroup_info 0
		.amdhsa_system_vgpr_workitem_id 1
		.amdhsa_next_free_vgpr 43
		.amdhsa_next_free_sgpr 102
		.amdhsa_reserve_vcc 1
		.amdhsa_float_round_mode_32 0
		.amdhsa_float_round_mode_16_64 0
		.amdhsa_float_denorm_mode_32 3
		.amdhsa_float_denorm_mode_16_64 3
		.amdhsa_fp16_overflow 0
		.amdhsa_workgroup_processor_mode 1
		.amdhsa_memory_ordered 1
		.amdhsa_forward_progress 1
		.amdhsa_inst_pref_size 99
		.amdhsa_round_robin_scheduling 0
		.amdhsa_exception_fp_ieee_invalid_op 0
		.amdhsa_exception_fp_denorm_src 0
		.amdhsa_exception_fp_ieee_div_zero 0
		.amdhsa_exception_fp_ieee_overflow 0
		.amdhsa_exception_fp_ieee_underflow 0
		.amdhsa_exception_fp_ieee_inexact 0
		.amdhsa_exception_int_div_zero 0
	.end_amdhsa_kernel
	.section	.text._Z9find_wallILi19EEvPcS0_Pi5BoxCUi,"axG",@progbits,_Z9find_wallILi19EEvPcS0_Pi5BoxCUi,comdat
.Lfunc_end1:
	.size	_Z9find_wallILi19EEvPcS0_Pi5BoxCUi, .Lfunc_end1-_Z9find_wallILi19EEvPcS0_Pi5BoxCUi
                                        ; -- End function
	.set _Z9find_wallILi19EEvPcS0_Pi5BoxCUi.num_vgpr, 43
	.set _Z9find_wallILi19EEvPcS0_Pi5BoxCUi.num_agpr, 0
	.set _Z9find_wallILi19EEvPcS0_Pi5BoxCUi.numbered_sgpr, 102
	.set _Z9find_wallILi19EEvPcS0_Pi5BoxCUi.num_named_barrier, 0
	.set _Z9find_wallILi19EEvPcS0_Pi5BoxCUi.private_seg_size, 0
	.set _Z9find_wallILi19EEvPcS0_Pi5BoxCUi.uses_vcc, 1
	.set _Z9find_wallILi19EEvPcS0_Pi5BoxCUi.uses_flat_scratch, 0
	.set _Z9find_wallILi19EEvPcS0_Pi5BoxCUi.has_dyn_sized_stack, 0
	.set _Z9find_wallILi19EEvPcS0_Pi5BoxCUi.has_recursion, 0
	.set _Z9find_wallILi19EEvPcS0_Pi5BoxCUi.has_indirect_call, 0
	.section	.AMDGPU.csdata,"",@progbits
; Kernel info:
; codeLenInByte = 12572
; TotalNumSgprs: 104
; NumVgprs: 43
; ScratchSize: 0
; MemoryBound: 0
; FloatMode: 240
; IeeeMode: 1
; LDSByteSize: 0 bytes/workgroup (compile time only)
; SGPRBlocks: 0
; VGPRBlocks: 5
; NumSGPRsForWavesPerEU: 104
; NumVGPRsForWavesPerEU: 43
; Occupancy: 16
; WaveLimiterHint : 0
; COMPUTE_PGM_RSRC2:SCRATCH_EN: 0
; COMPUTE_PGM_RSRC2:USER_SGPR: 2
; COMPUTE_PGM_RSRC2:TRAP_HANDLER: 0
; COMPUTE_PGM_RSRC2:TGID_X_EN: 1
; COMPUTE_PGM_RSRC2:TGID_Y_EN: 1
; COMPUTE_PGM_RSRC2:TGID_Z_EN: 1
; COMPUTE_PGM_RSRC2:TIDIG_COMP_CNT: 1
	.section	.text._Z15init_velocity_gIL12lattice_type19EEv8lbm_vars5BoxCUS2_dfffd,"axG",@progbits,_Z15init_velocity_gIL12lattice_type19EEv8lbm_vars5BoxCUS2_dfffd,comdat
	.protected	_Z15init_velocity_gIL12lattice_type19EEv8lbm_vars5BoxCUS2_dfffd ; -- Begin function _Z15init_velocity_gIL12lattice_type19EEv8lbm_vars5BoxCUS2_dfffd
	.globl	_Z15init_velocity_gIL12lattice_type19EEv8lbm_vars5BoxCUS2_dfffd
	.p2align	8
	.type	_Z15init_velocity_gIL12lattice_type19EEv8lbm_vars5BoxCUS2_dfffd,@function
_Z15init_velocity_gIL12lattice_type19EEv8lbm_vars5BoxCUS2_dfffd: ; @_Z15init_velocity_gIL12lattice_type19EEv8lbm_vars5BoxCUS2_dfffd
; %bb.0:
	s_load_b32 s19, s[0:1], 0x8c
	s_lshr_b32 s33, ttmp7, 16
	s_wait_kmcnt 0x0
	s_cmp_ge_i32 s33, s19
	s_cbranch_scc1 .LBB2_9
; %bb.1:
	s_clause 0x2
	s_load_b64 s[20:21], s[0:1], 0xc0
	s_load_b64 s[2:3], s[0:1], 0xcc
	s_load_u16 s26, s[0:1], 0xd6
	s_mov_b32 s4, 0
	s_mov_b32 s5, 0x40420000
	s_clause 0x1
	s_load_b96 s[16:18], s[0:1], 0xb0
	s_load_b64 s[30:31], s[0:1], 0xa0
	s_add_nc_u64 s[34:35], s[0:1], 0x78
	s_abs_i32 s36, s19
	s_add_nc_u64 s[24:25], s[0:1], 0xc8
	s_cvt_f32_u32 s39, s36
	v_bfe_u32 v21, v0, 10, 10
	s_and_b32 s43, ttmp7, 0xffff
	v_and_b32_e32 v0, 0x3ff, v0
	s_mov_b32 s27, 0
	s_wait_kmcnt 0x0
	v_div_scale_f64 v[1:2], null, s[4:5], s[4:5], s[20:21]
	v_div_scale_f64 v[7:8], vcc_lo, s[20:21], 0x40420000, s[20:21]
	s_sub_f32 s6, s17, s16
	s_xor_b32 s4, s16, 0x80000000
	s_xor_b32 s5, s17, 0x80000000
	s_sub_f32 s7, s18, s16
	s_sub_f32 s8, s18, s17
	s_wait_alu 0xfffe
	s_sub_f32 s9, s4, s17
	s_sub_f32 s4, s4, s18
	s_mul_f32 s6, s6, 0x40400000
	s_sub_f32 s5, s5, s18
	s_mul_f32 s7, s7, 0x40400000
	s_mul_f32 s8, s8, 0x40400000
	v_cvt_f64_f32_e32 v[24:25], s6
	s_mul_f32 s6, s9, 0x40400000
	s_wait_alu 0xfffe
	s_mul_f32 s4, s4, 0x40400000
	s_mul_f32 s5, s5, 0x40400000
	v_cvt_f64_f32_e32 v[28:29], s7
	v_cvt_f64_f32_e32 v[32:33], s8
	;; [unrolled: 1-line block ×3, first 2 shown]
	s_wait_alu 0xfffe
	v_cvt_f64_f32_e32 v[26:27], s4
	v_cvt_f64_f32_e32 v[30:31], s5
	s_mul_f32 s4, s16, 0xc0400000
	s_fmamk_f32 s5, s16, 0xc0400000, 1.0
	s_mul_f32 s6, s17, 0xc0400000
	s_mul_f32 s8, s18, 0xc0400000
	s_fmamk_f32 s7, s17, 0xc0400000, 1.0
	s_fmamk_f32 s9, s18, 0xc0400000, 1.0
	s_wait_alu 0xfffe
	s_mul_f32 s4, s4, s4
	s_abs_i32 s40, s31
	v_cvt_f64_f32_e32 v[9:10], s7
	v_cvt_f64_f32_e32 v[11:12], s9
	s_wait_alu 0xfffe
	v_cvt_f64_f32_e32 v[13:14], s4
	s_mul_f32 s4, s17, s17
	v_rcp_f64_e32 v[3:4], v[1:2]
	s_wait_alu 0xfffe
	s_delay_alu instid0(SALU_CYCLE_1) | instskip(SKIP_1) | instid1(SALU_CYCLE_2)
	s_fmac_f32 s4, s16, s16
	s_wait_alu 0xfffe
	s_fmac_f32 s4, s18, s18
	s_wait_alu 0xfffe
	s_delay_alu instid0(SALU_CYCLE_2) | instskip(SKIP_1) | instid1(SALU_CYCLE_2)
	s_mul_f32 s4, s4, 0x40400000
	s_wait_alu 0xfffe
	v_cvt_f64_f32_e32 v[52:53], s4
	v_add_f64_e32 v[15:16], 1.0, v[24:25]
	v_mul_f64_e32 v[17:18], v[24:25], v[24:25]
	v_add_f64_e32 v[19:20], 1.0, v[28:29]
	v_mul_f64_e32 v[34:35], v[28:29], v[28:29]
	;; [unrolled: 2-line block ×6, first 2 shown]
	s_delay_alu instid0(TRANS32_DEP_1)
	v_fma_f64 v[5:6], -v[1:2], v[3:4], 1.0
	v_fma_f64 v[15:16], v[17:18], 0.5, v[15:16]
	v_fma_f64 v[19:20], v[34:35], 0.5, v[19:20]
	;; [unrolled: 1-line block ×4, first 2 shown]
	v_cvt_f64_f32_e32 v[44:45], s18
	v_fma_f64 v[34:35], v[50:51], 0.5, v[48:49]
	v_fma_f64 v[46:47], v[52:53], -0.5, 1.0
	v_rcp_iflag_f32_e32 v50, s39
	v_fma_f64 v[3:4], v[3:4], v[5:6], v[3:4]
	s_delay_alu instid0(VALU_DEP_1) | instskip(NEXT) | instid1(VALU_DEP_1)
	v_fma_f64 v[5:6], -v[1:2], v[3:4], 1.0
	v_fma_f64 v[3:4], v[3:4], v[5:6], v[3:4]
	s_delay_alu instid0(VALU_DEP_1) | instskip(NEXT) | instid1(VALU_DEP_1)
	v_mul_f64_e32 v[5:6], v[7:8], v[3:4]
	v_fma_f64 v[1:2], -v[1:2], v[5:6], v[7:8]
	v_cvt_f64_f32_e32 v[7:8], s5
	s_mul_f32 s5, s6, s6
	s_mul_f32 s6, s8, s8
	s_delay_alu instid0(VALU_DEP_2) | instskip(SKIP_3) | instid1(VALU_DEP_4)
	v_div_fmas_f64 v[1:2], v[1:2], v[3:4], v[5:6]
	s_wait_alu 0xfffe
	v_cvt_f64_f32_e32 v[3:4], s5
	v_cvt_f64_f32_e32 v[5:6], s6
	v_fma_f64 v[7:8], v[13:14], 0.5, v[7:8]
	v_fma_f64 v[13:14], v[42:43], 0.5, v[40:41]
	s_clause 0x5
	s_load_b128 s[4:7], s[0:1], 0x90
	s_load_b128 s[8:11], s[0:1], 0x48
	s_load_b64 s[22:23], s[0:1], 0x58
	s_load_b32 s41, s[0:1], 0x88
	s_load_b32 s42, s[0:1], 0x80
	;; [unrolled: 1-line block ×3, first 2 shown]
	v_cvt_f64_f32_e32 v[42:43], s17
	s_clause 0x3
	s_load_b128 s[12:15], s[0:1], 0x18
	s_load_b64 s[28:29], s[0:1], 0x28
	s_load_b32 s37, s[34:35], 0x4
	s_load_b32 s38, s[34:35], 0xc
	s_cvt_f32_u32 s1, s40
	s_wait_kmcnt 0x0
	s_abs_i32 s39, s7
	s_wait_alu 0xfffe
	s_cvt_f32_u32 s0, s39
	s_abs_i32 s46, s37
	s_delay_alu instid0(SALU_CYCLE_1)
	s_cvt_f32_u32 s34, s46
	v_div_fixup_f64 v[38:39], v[1:2], 0x40420000, s[20:21]
	v_fma_f64 v[1:2], v[3:4], 0.5, v[9:10]
	v_fma_f64 v[3:4], v[5:6], 0.5, v[11:12]
	v_fma_f64 v[40:41], v[52:53], -0.5, v[7:8]
	v_fma_f64 v[5:6], v[52:53], -0.5, v[13:14]
	;; [unrolled: 1-line block ×7, first 2 shown]
	v_cvt_f64_f32_e32 v[36:37], s16
	v_add_f64_e32 v[34:35], v[38:39], v[38:39]
	v_fma_f64 v[17:18], v[52:53], -0.5, v[1:2]
	v_fma_f64 v[19:20], v[52:53], -0.5, v[3:4]
	v_mul_f64_e32 v[48:49], 0x40280000, v[38:39]
	v_mul_f64_e32 v[1:2], v[38:39], v[5:6]
	;; [unrolled: 1-line block ×7, first 2 shown]
	v_rcp_iflag_f32_e32 v38, s0
	v_rcp_iflag_f32_e32 v39, s1
	s_add_co_i32 s1, s41, s31
	s_abs_i32 s41, s38
	s_add_co_i32 s0, s42, s7
	s_mul_i32 s42, s2, s26
	s_cvt_f32_u32 s2, s41
	s_wait_alu 0xfffe
	s_sub_co_i32 s6, s0, s6
	s_sub_co_i32 s44, s1, s30
	s_delay_alu instid0(TRANS32_DEP_1) | instskip(SKIP_3) | instid1(SALU_CYCLE_1)
	v_readfirstlane_b32 s31, v39
	s_mul_f32 s1, s31, 0x4f7ffffe
	v_readfirstlane_b32 s31, v50
	s_wait_alu 0xfffe
	s_cvt_u32_f32 s1, s1
	v_mul_f64_e32 v[13:14], v[34:35], v[40:41]
	v_mul_f64_e32 v[15:16], v[34:35], v[17:18]
	;; [unrolled: 1-line block ×3, first 2 shown]
	v_mad_co_u64_u32 v[19:20], null, s43, s26, v[21:22]
	v_readfirstlane_b32 s26, v38
	v_rcp_iflag_f32_e32 v20, s2
	s_sub_co_i32 s2, 0, s39
	v_fma_f64 v[22:23], -v[34:35], v[22:23], v[1:2]
	v_fma_f64 v[24:25], -v[34:35], v[24:25], v[3:4]
	s_mul_f32 s0, s26, 0x4f7ffffe
	v_fma_f64 v[26:27], -v[34:35], v[26:27], v[5:6]
	v_fma_f64 v[28:29], -v[34:35], v[28:29], v[7:8]
	;; [unrolled: 1-line block ×3, first 2 shown]
	s_wait_alu 0xfffe
	s_cvt_u32_f32 s0, s0
	v_fma_f64 v[32:33], -v[34:35], v[32:33], v[11:12]
	v_readfirstlane_b32 s30, v20
	v_mul_f64_e32 v[20:21], v[48:49], v[46:47]
	s_wait_alu 0xfffe
	s_mul_i32 s2, s2, s0
	s_abs_i32 s43, s5
	s_wait_alu 0xfffe
	s_mul_hi_u32 s2, s0, s2
	s_sub_co_i32 s26, 0, s40
	s_wait_alu 0xfffe
	s_add_co_i32 s45, s0, s2
	s_cvt_f32_u32 s2, s43
	v_rcp_iflag_f32_e32 v41, s34
	s_mul_i32 s26, s26, s1
	s_mul_f32 s0, s30, 0x4f7ffffe
	s_wait_alu 0xfffe
	v_rcp_iflag_f32_e32 v40, s2
	s_mul_hi_u32 s26, s1, s26
	s_sub_co_i32 s2, 0, s41
	s_wait_alu 0xfffe
	s_add_co_i32 s30, s1, s26
	s_mul_f32 s1, s31, 0x4f7ffffe
	s_cvt_u32_f32 s0, s0
	s_sub_co_i32 s26, 0, s36
	v_readfirstlane_b32 s35, v41
	s_wait_alu 0xfffe
	s_cvt_u32_f32 s1, s1
	s_mul_i32 s2, s2, s0
	v_readfirstlane_b32 s34, v40
	v_fma_f64 v[34:35], v[48:49], v[36:37], v[13:14]
	v_fma_f64 v[36:37], v[48:49], v[42:43], v[15:16]
	;; [unrolled: 1-line block ×3, first 2 shown]
	s_wait_alu 0xfffe
	s_mul_hi_u32 s2, s0, s2
	s_mul_i32 s26, s26, s1
	s_mul_f32 s48, s34, 0x4f7ffffe
	s_wait_alu 0xfffe
	s_mul_hi_u32 s26, s1, s26
	s_add_co_i32 s47, s0, s2
	s_mul_f32 s0, s35, 0x4f7ffffe
	s_wait_alu 0xfffe
	s_add_co_i32 s34, s1, s26
	s_cvt_u32_f32 s1, s48
	s_sub_co_i32 s2, 0, s43
	s_cvt_u32_f32 s0, s0
	s_sub_co_i32 s26, 0, s46
	s_wait_alu 0xfffe
	s_mul_i32 s2, s2, s1
	s_mov_b32 s31, s27
	s_wait_alu 0xfffe
	s_mul_hi_u32 s2, s1, s2
	s_mul_i32 s26, s26, s0
	s_wait_alu 0xfffe
	s_add_co_i32 s48, s1, s2
	s_mul_hi_u32 s1, s0, s26
	s_add_co_i32 s2, s5, s49
	s_mov_b32 s35, s27
	s_wait_alu 0xfffe
	s_add_co_i32 s49, s0, s1
	s_sub_co_i32 s4, s2, s4
	v_cmp_gt_i32_e32 vcc_lo, s38, v19
	s_branch .LBB2_3
.LBB2_2:                                ;   in Loop: Header=BB2_3 Depth=1
	s_wait_alu 0xfffe
	s_or_b32 exec_lo, exec_lo, s50
	s_add_co_i32 s33, s3, s33
	s_delay_alu instid0(SALU_CYCLE_1)
	s_cmp_ge_i32 s33, s19
	s_cbranch_scc1 .LBB2_9
.LBB2_3:                                ; =>This Loop Header: Depth=1
                                        ;     Child Loop BB2_6 Depth 2
                                        ;       Child Loop BB2_8 Depth 3
	s_and_saveexec_b32 s50, vcc_lo
	s_cbranch_execz .LBB2_2
; %bb.4:                                ;   in Loop: Header=BB2_3 Depth=1
	s_clause 0x1
	s_load_b32 s2, s[24:25], 0xc
	s_load_b32 s54, s[24:25], 0x0
	s_add_co_i32 s51, s33, s44
	s_add_co_i32 s52, s33, s19
	s_wait_alu 0xfffe
	s_abs_i32 s26, s51
	s_ashr_i32 s51, s51, 31
	s_wait_alu 0xfffe
	s_mul_u64 s[0:1], s[26:27], s[30:31]
	v_mov_b32_e32 v43, v19
	s_wait_alu 0xfffe
	s_mul_i32 s0, s1, s40
	s_mov_b32 s71, 0
	s_wait_alu 0xfffe
	s_sub_co_i32 s0, s26, s0
	s_wait_alu 0xfffe
	s_sub_co_i32 s1, s0, s40
	s_wait_kmcnt 0x0
	s_and_b32 s2, s2, 0xffff
	s_cmp_ge_u32 s0, s40
	s_wait_alu 0xfffe
	v_mad_co_u64_u32 v[40:41], null, ttmp9, s2, v[0:1]
	s_cselect_b32 s0, s1, s0
	s_wait_alu 0xfffe
	s_sub_co_i32 s1, s0, s40
	s_cmp_ge_u32 s0, s40
	s_wait_alu 0xfffe
	s_cselect_b32 s53, s1, s0
	s_abs_i32 s26, s52
	s_ashr_i32 s52, s52, 31
	s_wait_alu 0xfffe
	s_mul_u64 s[0:1], s[26:27], s[34:35]
	s_wait_alu 0xfffe
	s_mul_i32 s0, s1, s36
	s_xor_b32 s1, s53, s51
	s_wait_alu 0xfffe
	s_sub_co_i32 s0, s26, s0
	s_sub_co_i32 s51, s1, s51
	s_wait_alu 0xfffe
	s_sub_co_i32 s1, s0, s36
	s_cmp_ge_u32 s0, s36
	s_mul_i32 s26, s54, s2
	s_wait_alu 0xfffe
	s_cselect_b32 s0, s1, s0
	s_mul_i32 s51, s51, s7
	s_wait_alu 0xfffe
	s_sub_co_i32 s1, s0, s36
	s_cmp_ge_u32 s0, s36
	s_wait_alu 0xfffe
	s_cselect_b32 s0, s1, s0
	s_wait_alu 0xfffe
	s_xor_b32 s1, s0, s52
	v_cmp_gt_i32_e64 s0, s37, v40
	s_wait_alu 0xfffe
	s_sub_co_i32 s1, s1, s52
	s_wait_alu 0xfffe
	s_add_co_i32 s2, s1, s19
	s_mul_i32 s52, s1, s38
	s_wait_alu 0xfffe
	s_add_co_i32 s1, s2, s19
	s_mul_i32 s53, s2, s38
	;; [unrolled: 3-line block ×18, first 2 shown]
	s_wait_alu 0xfffe
	s_mul_i32 s70, s70, s38
	s_branch .LBB2_6
.LBB2_5:                                ;   in Loop: Header=BB2_6 Depth=2
	s_or_b32 exec_lo, exec_lo, s72
	v_add_nc_u32_e32 v43, s42, v43
	s_delay_alu instid0(VALU_DEP_1)
	v_cmp_le_i32_e64 s1, s38, v43
	s_or_b32 s71, s1, s71
	s_wait_alu 0xfffe
	s_and_not1_b32 exec_lo, exec_lo, s71
	s_cbranch_execz .LBB2_2
.LBB2_6:                                ;   Parent Loop BB2_3 Depth=1
                                        ; =>  This Loop Header: Depth=2
                                        ;       Child Loop BB2_8 Depth 3
	s_and_saveexec_b32 s72, s0
	s_cbranch_execz .LBB2_5
; %bb.7:                                ;   in Loop: Header=BB2_6 Depth=2
	v_dual_mov_b32 v64, v40 :: v_dual_add_nc_u32 v41, s6, v43
	v_add_nc_u32_e32 v42, s38, v43
	s_mov_b32 s73, 0
	s_delay_alu instid0(VALU_DEP_2) | instskip(NEXT) | instid1(VALU_DEP_2)
	v_sub_nc_u32_e32 v44, 0, v41
	v_sub_nc_u32_e32 v45, 0, v42
	s_delay_alu instid0(VALU_DEP_2) | instskip(SKIP_1) | instid1(VALU_DEP_3)
	v_max_i32_e32 v44, v41, v44
	v_ashrrev_i32_e32 v41, 31, v41
	v_max_i32_e32 v45, v42, v45
	v_ashrrev_i32_e32 v42, 31, v42
	s_delay_alu instid0(VALU_DEP_4) | instskip(NEXT) | instid1(VALU_DEP_3)
	v_mul_hi_u32 v46, v44, s45
	v_mul_hi_u32 v47, v45, s47
	s_delay_alu instid0(VALU_DEP_2) | instskip(NEXT) | instid1(VALU_DEP_2)
	v_mul_lo_u32 v46, v46, s39
	v_mul_lo_u32 v47, v47, s41
	s_delay_alu instid0(VALU_DEP_2) | instskip(NEXT) | instid1(VALU_DEP_2)
	v_sub_nc_u32_e32 v44, v44, v46
	v_sub_nc_u32_e32 v45, v45, v47
	s_delay_alu instid0(VALU_DEP_2) | instskip(SKIP_1) | instid1(VALU_DEP_3)
	v_subrev_nc_u32_e32 v46, s39, v44
	v_cmp_le_u32_e64 s1, s39, v44
	v_subrev_nc_u32_e32 v47, s41, v45
	s_wait_alu 0xf1ff
	s_delay_alu instid0(VALU_DEP_2) | instskip(SKIP_1) | instid1(VALU_DEP_2)
	v_cndmask_b32_e64 v44, v44, v46, s1
	v_cmp_le_u32_e64 s1, s41, v45
	v_subrev_nc_u32_e32 v46, s39, v44
	s_wait_alu 0xf1ff
	s_delay_alu instid0(VALU_DEP_2) | instskip(SKIP_1) | instid1(VALU_DEP_2)
	v_cndmask_b32_e64 v45, v45, v47, s1
	;; [unrolled: 5-line block ×3, first 2 shown]
	v_cmp_le_u32_e64 s1, s41, v45
	v_xor_b32_e32 v44, v44, v41
	s_wait_alu 0xf1ff
	s_delay_alu instid0(VALU_DEP_2) | instskip(NEXT) | instid1(VALU_DEP_2)
	v_cndmask_b32_e64 v45, v45, v47, s1
	v_sub_nc_u32_e32 v41, v44, v41
	s_delay_alu instid0(VALU_DEP_2) | instskip(NEXT) | instid1(VALU_DEP_2)
	v_xor_b32_e32 v45, v45, v42
	v_add_nc_u32_e32 v41, s51, v41
	s_delay_alu instid0(VALU_DEP_2) | instskip(NEXT) | instid1(VALU_DEP_2)
	v_sub_nc_u32_e32 v42, v45, v42
	v_mul_lo_u32 v44, v41, s5
	s_delay_alu instid0(VALU_DEP_2)
	v_add_nc_u32_e32 v45, s52, v42
	v_add_nc_u32_e32 v46, s53, v42
	;; [unrolled: 1-line block ×18, first 2 shown]
	s_wait_alu 0xfffe
	v_add_nc_u32_e32 v42, s70, v42
	v_mul_lo_u32 v45, v45, s37
	v_mul_lo_u32 v46, v46, s37
	;; [unrolled: 1-line block ×19, first 2 shown]
.LBB2_8:                                ;   Parent Loop BB2_3 Depth=1
                                        ;     Parent Loop BB2_6 Depth=2
                                        ; =>    This Inner Loop Header: Depth=3
	v_add_nc_u32_e32 v68, s4, v64
	v_dual_mov_b32 v42, s21 :: v_dual_add_nc_u32 v69, s37, v64
	v_mov_b32_e32 v41, s20
	v_dual_mov_b32 v65, s18 :: v_dual_add_nc_u32 v64, s26, v64
	s_delay_alu instid0(VALU_DEP_4)
	v_sub_nc_u32_e32 v70, 0, v68
	v_ashrrev_i32_e32 v72, 31, v68
	v_sub_nc_u32_e32 v71, 0, v69
	v_ashrrev_i32_e32 v73, 31, v69
	v_cmp_le_i32_e64 s1, s37, v64
	v_max_i32_e32 v68, v68, v70
	v_dual_mov_b32 v67, s16 :: v_dual_mov_b32 v66, s17
	v_max_i32_e32 v69, v69, v71
	s_or_b32 s73, s1, s73
	s_delay_alu instid0(VALU_DEP_3) | instskip(NEXT) | instid1(VALU_DEP_2)
	v_mul_hi_u32 v70, v68, s48
	v_mul_hi_u32 v71, v69, s49
	s_delay_alu instid0(VALU_DEP_2) | instskip(NEXT) | instid1(VALU_DEP_2)
	v_mul_lo_u32 v70, v70, s43
	v_mul_lo_u32 v71, v71, s46
	s_delay_alu instid0(VALU_DEP_2) | instskip(NEXT) | instid1(VALU_DEP_2)
	v_sub_nc_u32_e32 v68, v68, v70
	v_sub_nc_u32_e32 v69, v69, v71
	s_delay_alu instid0(VALU_DEP_2) | instskip(SKIP_1) | instid1(VALU_DEP_3)
	v_subrev_nc_u32_e32 v70, s43, v68
	v_cmp_le_u32_e64 s2, s43, v68
	v_subrev_nc_u32_e32 v71, s46, v69
	v_cmp_le_u32_e64 s1, s46, v69
	s_wait_alu 0xf1ff
	s_delay_alu instid0(VALU_DEP_3) | instskip(NEXT) | instid1(VALU_DEP_2)
	v_cndmask_b32_e64 v68, v68, v70, s2
	v_cndmask_b32_e64 v69, v69, v71, s1
	s_delay_alu instid0(VALU_DEP_2) | instskip(SKIP_1) | instid1(VALU_DEP_3)
	v_subrev_nc_u32_e32 v70, s43, v68
	v_cmp_le_u32_e64 s2, s43, v68
	v_subrev_nc_u32_e32 v71, s46, v69
	v_cmp_le_u32_e64 s1, s46, v69
	s_wait_alu 0xf1ff
	s_delay_alu instid0(VALU_DEP_3) | instskip(NEXT) | instid1(VALU_DEP_2)
	v_cndmask_b32_e64 v68, v68, v70, s2
	v_cndmask_b32_e64 v69, v69, v71, s1
	s_delay_alu instid0(VALU_DEP_2) | instskip(NEXT) | instid1(VALU_DEP_2)
	v_xor_b32_e32 v68, v68, v72
	v_xor_b32_e32 v69, v69, v73
	s_delay_alu instid0(VALU_DEP_2) | instskip(NEXT) | instid1(VALU_DEP_2)
	v_sub_nc_u32_e32 v68, v68, v72
	v_sub_nc_u32_e32 v142, v69, v73
	s_delay_alu instid0(VALU_DEP_2) | instskip(NEXT) | instid1(VALU_DEP_2)
	v_add_nc_u32_e32 v68, v44, v68
	v_add_nc_u32_e32 v70, v45, v142
	;; [unrolled: 1-line block ×3, first 2 shown]
	s_delay_alu instid0(VALU_DEP_3)
	v_ashrrev_i32_e32 v69, 31, v68
	v_add_nc_u32_e32 v74, v47, v142
	v_add_nc_u32_e32 v76, v48, v142
	v_ashrrev_i32_e32 v71, 31, v70
	v_ashrrev_i32_e32 v73, 31, v72
	v_lshlrev_b64_e32 v[102:103], 3, v[68:69]
	v_lshlrev_b64_e32 v[68:69], 2, v[68:69]
	v_ashrrev_i32_e32 v75, 31, v74
	v_lshlrev_b64_e32 v[70:71], 3, v[70:71]
	v_lshlrev_b64_e32 v[72:73], 3, v[72:73]
	v_add_nc_u32_e32 v78, v49, v142
	v_add_co_u32 v102, s1, s8, v102
	s_wait_alu 0xf1ff
	v_add_co_ci_u32_e64 v103, null, s9, v103, s1
	v_add_co_u32 v104, s1, s12, v68
	s_wait_alu 0xf1ff
	v_add_co_ci_u32_e64 v105, null, s13, v69, s1
	v_add_co_u32 v106, s1, s14, v68
	s_wait_alu 0xf1ff
	v_add_co_ci_u32_e64 v107, null, s15, v69, s1
	v_add_co_u32 v68, s1, s28, v68
	s_wait_alu 0xf1ff
	v_add_co_ci_u32_e64 v69, null, s29, v69, s1
	v_add_co_u32 v108, s1, s10, v70
	v_ashrrev_i32_e32 v77, 31, v76
	v_lshlrev_b64_e32 v[74:75], 3, v[74:75]
	s_wait_alu 0xf1ff
	v_add_co_ci_u32_e64 v109, null, s11, v71, s1
	v_add_co_u32 v70, s1, s22, v70
	v_add_nc_u32_e32 v80, v50, v142
	s_wait_alu 0xf1ff
	v_add_co_ci_u32_e64 v71, null, s23, v71, s1
	v_add_co_u32 v110, s1, s10, v72
	v_ashrrev_i32_e32 v79, 31, v78
	v_lshlrev_b64_e32 v[76:77], 3, v[76:77]
	s_wait_alu 0xf1ff
	v_add_co_ci_u32_e64 v111, null, s11, v73, s1
	v_add_co_u32 v72, s1, s22, v72
	v_add_nc_u32_e32 v82, v51, v142
	s_wait_alu 0xf1ff
	v_add_co_ci_u32_e64 v73, null, s23, v73, s1
	;; [unrolled: 9-line block ×11, first 2 shown]
	v_add_co_u32 v130, s1, s10, v92
	v_ashrrev_i32_e32 v99, 31, v98
	v_lshlrev_b64_e32 v[96:97], 3, v[96:97]
	s_wait_alu 0xf1ff
	v_add_co_ci_u32_e64 v131, null, s11, v93, s1
	v_add_co_u32 v92, s1, s22, v92
	s_wait_alu 0xf1ff
	v_add_co_ci_u32_e64 v93, null, s23, v93, s1
	v_add_co_u32 v132, s1, s10, v94
	v_add_nc_u32_e32 v140, v61, v142
	v_ashrrev_i32_e32 v101, 31, v100
	v_lshlrev_b64_e32 v[98:99], 3, v[98:99]
	s_wait_alu 0xf1ff
	v_add_co_ci_u32_e64 v133, null, s11, v95, s1
	v_add_co_u32 v94, s1, s22, v94
	s_wait_alu 0xf1ff
	v_add_co_ci_u32_e64 v95, null, s23, v95, s1
	v_add_co_u32 v134, s1, s10, v96
	v_ashrrev_i32_e32 v141, 31, v140
	v_lshlrev_b64_e32 v[100:101], 3, v[100:101]
	s_wait_alu 0xf1ff
	v_add_co_ci_u32_e64 v135, null, s11, v97, s1
	v_add_co_u32 v96, s1, s22, v96
	s_wait_alu 0xf1ff
	v_add_co_ci_u32_e64 v97, null, s23, v97, s1
	v_add_co_u32 v136, s1, s10, v98
	;; [unrolled: 3-line block ×3, first 2 shown]
	v_lshlrev_b64_e32 v[140:141], 3, v[140:141]
	s_wait_alu 0xf1ff
	v_add_co_ci_u32_e64 v99, null, s23, v99, s1
	v_add_co_u32 v138, s1, s10, v100
	s_wait_alu 0xf1ff
	v_add_co_ci_u32_e64 v139, null, s11, v101, s1
	v_add_co_u32 v100, s1, s22, v100
	s_wait_alu 0xf1ff
	v_add_co_ci_u32_e64 v101, null, s23, v101, s1
	global_store_b64 v[102:103], v[41:42], off
	v_add_co_u32 v41, s1, s10, v140
	s_wait_alu 0xf1ff
	v_add_co_ci_u32_e64 v42, null, s11, v141, s1
	v_add_co_u32 v102, s1, s22, v140
	v_add_nc_u32_e32 v140, v62, v142
	v_add_nc_u32_e32 v142, v63, v142
	s_wait_alu 0xf1ff
	v_add_co_ci_u32_e64 v103, null, s23, v141, s1
	global_store_b32 v[104:105], v67, off
	v_ashrrev_i32_e32 v141, 31, v140
	v_ashrrev_i32_e32 v143, 31, v142
	global_store_b32 v[106:107], v66, off
	v_lshlrev_b64_e32 v[140:141], 3, v[140:141]
	v_lshlrev_b64_e32 v[142:143], 3, v[142:143]
	s_delay_alu instid0(VALU_DEP_2) | instskip(SKIP_1) | instid1(VALU_DEP_3)
	v_add_co_u32 v104, s1, s10, v140
	s_wait_alu 0xf1ff
	v_add_co_ci_u32_e64 v105, null, s11, v141, s1
	v_add_co_u32 v140, s1, s22, v140
	s_wait_alu 0xf1ff
	v_add_co_ci_u32_e64 v141, null, s23, v141, s1
	;; [unrolled: 3-line block ×4, first 2 shown]
	global_store_b32 v[68:69], v65, off
	global_store_b64 v[108:109], v[20:21], off
	global_store_b64 v[70:71], v[20:21], off
	;; [unrolled: 1-line block ×38, first 2 shown]
	s_and_not1_b32 exec_lo, exec_lo, s73
	s_cbranch_execnz .LBB2_8
	s_branch .LBB2_5
.LBB2_9:
	s_nop 0
	s_sendmsg sendmsg(MSG_DEALLOC_VGPRS)
	s_endpgm
	.section	.rodata,"a",@progbits
	.p2align	6, 0x0
	.amdhsa_kernel _Z15init_velocity_gIL12lattice_type19EEv8lbm_vars5BoxCUS2_dfffd
		.amdhsa_group_segment_fixed_size 0
		.amdhsa_private_segment_fixed_size 0
		.amdhsa_kernarg_size 456
		.amdhsa_user_sgpr_count 2
		.amdhsa_user_sgpr_dispatch_ptr 0
		.amdhsa_user_sgpr_queue_ptr 0
		.amdhsa_user_sgpr_kernarg_segment_ptr 1
		.amdhsa_user_sgpr_dispatch_id 0
		.amdhsa_user_sgpr_private_segment_size 0
		.amdhsa_wavefront_size32 1
		.amdhsa_uses_dynamic_stack 0
		.amdhsa_enable_private_segment 0
		.amdhsa_system_sgpr_workgroup_id_x 1
		.amdhsa_system_sgpr_workgroup_id_y 1
		.amdhsa_system_sgpr_workgroup_id_z 1
		.amdhsa_system_sgpr_workgroup_info 0
		.amdhsa_system_vgpr_workitem_id 1
		.amdhsa_next_free_vgpr 144
		.amdhsa_next_free_sgpr 74
		.amdhsa_reserve_vcc 1
		.amdhsa_float_round_mode_32 0
		.amdhsa_float_round_mode_16_64 0
		.amdhsa_float_denorm_mode_32 3
		.amdhsa_float_denorm_mode_16_64 3
		.amdhsa_fp16_overflow 0
		.amdhsa_workgroup_processor_mode 1
		.amdhsa_memory_ordered 1
		.amdhsa_forward_progress 1
		.amdhsa_inst_pref_size 34
		.amdhsa_round_robin_scheduling 0
		.amdhsa_exception_fp_ieee_invalid_op 0
		.amdhsa_exception_fp_denorm_src 0
		.amdhsa_exception_fp_ieee_div_zero 0
		.amdhsa_exception_fp_ieee_overflow 0
		.amdhsa_exception_fp_ieee_underflow 0
		.amdhsa_exception_fp_ieee_inexact 0
		.amdhsa_exception_int_div_zero 0
	.end_amdhsa_kernel
	.section	.text._Z15init_velocity_gIL12lattice_type19EEv8lbm_vars5BoxCUS2_dfffd,"axG",@progbits,_Z15init_velocity_gIL12lattice_type19EEv8lbm_vars5BoxCUS2_dfffd,comdat
.Lfunc_end2:
	.size	_Z15init_velocity_gIL12lattice_type19EEv8lbm_vars5BoxCUS2_dfffd, .Lfunc_end2-_Z15init_velocity_gIL12lattice_type19EEv8lbm_vars5BoxCUS2_dfffd
                                        ; -- End function
	.set _Z15init_velocity_gIL12lattice_type19EEv8lbm_vars5BoxCUS2_dfffd.num_vgpr, 144
	.set _Z15init_velocity_gIL12lattice_type19EEv8lbm_vars5BoxCUS2_dfffd.num_agpr, 0
	.set _Z15init_velocity_gIL12lattice_type19EEv8lbm_vars5BoxCUS2_dfffd.numbered_sgpr, 74
	.set _Z15init_velocity_gIL12lattice_type19EEv8lbm_vars5BoxCUS2_dfffd.num_named_barrier, 0
	.set _Z15init_velocity_gIL12lattice_type19EEv8lbm_vars5BoxCUS2_dfffd.private_seg_size, 0
	.set _Z15init_velocity_gIL12lattice_type19EEv8lbm_vars5BoxCUS2_dfffd.uses_vcc, 1
	.set _Z15init_velocity_gIL12lattice_type19EEv8lbm_vars5BoxCUS2_dfffd.uses_flat_scratch, 0
	.set _Z15init_velocity_gIL12lattice_type19EEv8lbm_vars5BoxCUS2_dfffd.has_dyn_sized_stack, 0
	.set _Z15init_velocity_gIL12lattice_type19EEv8lbm_vars5BoxCUS2_dfffd.has_recursion, 0
	.set _Z15init_velocity_gIL12lattice_type19EEv8lbm_vars5BoxCUS2_dfffd.has_indirect_call, 0
	.section	.AMDGPU.csdata,"",@progbits
; Kernel info:
; codeLenInByte = 4236
; TotalNumSgprs: 76
; NumVgprs: 144
; ScratchSize: 0
; MemoryBound: 0
; FloatMode: 240
; IeeeMode: 1
; LDSByteSize: 0 bytes/workgroup (compile time only)
; SGPRBlocks: 0
; VGPRBlocks: 17
; NumSGPRsForWavesPerEU: 76
; NumVGPRsForWavesPerEU: 144
; Occupancy: 10
; WaveLimiterHint : 1
; COMPUTE_PGM_RSRC2:SCRATCH_EN: 0
; COMPUTE_PGM_RSRC2:USER_SGPR: 2
; COMPUTE_PGM_RSRC2:TRAP_HANDLER: 0
; COMPUTE_PGM_RSRC2:TGID_X_EN: 1
; COMPUTE_PGM_RSRC2:TGID_Y_EN: 1
; COMPUTE_PGM_RSRC2:TGID_Z_EN: 1
; COMPUTE_PGM_RSRC2:TIDIG_COMP_CNT: 1
	.section	.text._Z20collide_and_stream_gIL12lattice_type19EEv8lbm_vars5BoxCUddbi,"axG",@progbits,_Z20collide_and_stream_gIL12lattice_type19EEv8lbm_vars5BoxCUddbi,comdat
	.protected	_Z20collide_and_stream_gIL12lattice_type19EEv8lbm_vars5BoxCUddbi ; -- Begin function _Z20collide_and_stream_gIL12lattice_type19EEv8lbm_vars5BoxCUddbi
	.globl	_Z20collide_and_stream_gIL12lattice_type19EEv8lbm_vars5BoxCUddbi
	.p2align	8
	.type	_Z20collide_and_stream_gIL12lattice_type19EEv8lbm_vars5BoxCUddbi,@function
_Z20collide_and_stream_gIL12lattice_type19EEv8lbm_vars5BoxCUddbi: ; @_Z20collide_and_stream_gIL12lattice_type19EEv8lbm_vars5BoxCUddbi
; %bb.0:
	s_load_b32 s33, s[0:1], 0x8c
	s_lshr_b32 s70, ttmp7, 16
	s_wait_kmcnt 0x0
	s_cmp_ge_i32 s70, s33
	s_cbranch_scc1 .LBB3_119
; %bb.1:
	s_load_b128 s[12:15], s[0:1], 0x90
	s_add_nc_u64 s[2:3], s[0:1], 0x78
	s_clause 0x2
	s_load_b32 s26, s[0:1], 0xa0
	s_load_b64 s[20:21], s[0:1], 0xac
	s_load_u16 s28, s[0:1], 0xb6
	s_clause 0x5
	s_load_b32 s71, s[2:3], 0x4
	s_load_b64 s[22:23], s[0:1], 0x28
	s_load_b32 s72, s[2:3], 0xc
	s_load_b64 s[24:25], s[0:1], 0x70
	s_load_b128 s[16:19], s[0:1], 0x18
	s_load_b256 s[4:11], s[0:1], 0x50
	s_add_nc_u64 s[0:1], s[0:1], 0xa8
                                        ; implicit-def: $vgpr140 : SGPR spill to VGPR lane
	v_bfe_u32 v3, v0, 10, 10
	v_writelane_b32 v140, s0, 0
	s_mov_b32 s48, 0x55555555
	s_mov_b32 s49, 0x3fd55555
	v_and_b32_e32 v0, 0x3ff, v0
	s_mov_b32 s27, 0
	v_writelane_b32 v140, s1, 1
                                        ; implicit-def: $vgpr63
                                        ; implicit-def: $vgpr14_vgpr15
	s_wait_kmcnt 0x0
	s_bitcmp1_b32 s26, 0
	s_cselect_b32 s73, -1, 0
	s_and_b32 s1, ttmp7, 0xffff
	v_cvt_f32_f64_e32 v5, s[12:13]
	s_wait_alu 0xfffe
	v_mad_co_u64_u32 v[3:4], null, s1, s28, v[3:4]
	s_mul_i32 s0, s33, s71
	s_abs_i32 s75, s72
	s_abs_i32 s76, s33
	;; [unrolled: 1-line block ×3, first 2 shown]
	s_mul_i32 s20, s20, s28
	s_wait_alu 0xfffe
	s_mul_i32 s28, s0, s72
	s_cvt_f32_u32 s0, s75
	s_cvt_f32_u32 s3, s76
	;; [unrolled: 1-line block ×3, first 2 shown]
	s_mov_b32 s13, 0x3fc55555
	s_mov_b32 s12, s48
	v_add_f64_e64 v[1:2], -s[14:15], 1.0
	s_wait_alu 0xfffe
	v_rcp_iflag_f32_e32 v8, s29
	s_mul_i32 s74, s33, s72
	s_sub_co_i32 s1, 0, s75
	s_mul_i32 s31, s74, 17
	s_sub_co_i32 s26, 0, s76
	s_mul_i32 s60, s31, s71
	s_mul_i32 s2, s74, s71
	s_lshl_b32 s78, s74, 3
	s_mul_i32 s79, s74, 9
	s_mul_i32 s80, s74, 13
	v_readfirstlane_b32 s29, v8
	s_mul_i32 s81, s74, 14
	s_mul_i32 s82, s74, 15
	s_lshl_b32 s83, s74, 4
	s_mul_i32 s35, s74, 18
	s_mul_f32 s29, s29, 0x4f7ffffe
	s_mul_i32 s50, s2, 10
	s_mul_i32 s52, s80, s71
	s_mul_i32 s54, s81, s71
	s_wait_alu 0xfffe
	s_cvt_u32_f32 s29, s29
	s_mul_i32 s56, s82, s71
	s_mul_i32 s58, s83, s71
	;; [unrolled: 1-line block ×3, first 2 shown]
	v_add_f32_e32 v4, 0, v5
	v_cvt_f64_f32_e64 v[6:7], -v5
	v_cvt_f64_f32_e32 v[10:11], v5
	v_rcp_iflag_f32_e32 v5, s3
	s_mul_i32 s66, s78, s71
	v_cvt_f64_f32_e32 v[12:13], v4
	v_rcp_iflag_f32_e32 v4, s0
	s_mul_i32 s68, s79, s71
	s_lshl_b32 s30, s2, 1
	s_mul_i32 s34, s2, 3
	s_lshl_b32 s36, s2, 2
	s_mul_i32 s38, s2, 5
	s_mul_i32 s40, s2, 6
	v_readfirstlane_b32 s3, v5
	s_mul_i32 s42, s2, 7
	s_mul_i32 s44, s2, 11
	v_readfirstlane_b32 s0, v4
	s_mul_i32 s46, s2, 12
	s_mul_f32 s3, s3, 0x4f7ffffe
	s_ashr_i32 s51, s50, 31
	s_ashr_i32 s53, s52, 31
	s_mul_f32 s0, s0, 0x4f7ffffe
	s_wait_alu 0xfffe
	s_cvt_u32_f32 s3, s3
	s_ashr_i32 s55, s54, 31
	s_ashr_i32 s57, s56, 31
	s_cvt_u32_f32 s31, s0
	s_wait_alu 0xfffe
	s_mul_i32 s26, s26, s3
	v_cmp_gt_i32_e64 s0, s72, v3
	s_ashr_i32 s59, s58, 31
	s_mul_i32 s1, s1, s31
	s_ashr_i32 s61, s60, 31
	s_wait_alu 0xfffe
	s_mul_hi_u32 s1, s31, s1
	s_ashr_i32 s63, s62, 31
	s_wait_alu 0xfffe
	s_add_co_i32 s86, s31, s1
	s_sub_co_i32 s1, 0, s77
	s_ashr_i32 s67, s66, 31
	s_wait_alu 0xfffe
	s_mul_i32 s1, s1, s29
	s_ashr_i32 s69, s68, 31
	s_wait_alu 0xfffe
	s_mul_hi_u32 s1, s29, s1
	v_mul_f64_e32 v[4:5], s[48:49], v[6:7]
	v_mul_f64_e32 v[6:7], s[12:13], v[6:7]
	v_mul_f64_e32 v[8:9], s[48:49], v[10:11]
	v_mul_f64_e32 v[10:11], s[12:13], v[10:11]
	v_mul_f64_e32 v[12:13], s[12:13], v[12:13]
	s_mul_hi_u32 s12, s3, s26
	s_mov_b32 s49, s27
	s_wait_alu 0xfffe
	s_add_co_i32 s48, s3, s12
	s_ashr_i32 s3, s2, 31
	s_add_co_i32 s87, s29, s1
	s_ashr_i32 s45, s44, 31
	s_ashr_i32 s47, s46, 31
	s_ashr_i32 s31, s30, 31
	s_ashr_i32 s35, s34, 31
	s_ashr_i32 s37, s36, 31
	s_ashr_i32 s39, s38, 31
	s_ashr_i32 s41, s40, 31
	s_ashr_i32 s43, s42, 31
	s_ashr_i32 s29, s28, 31
	s_add_co_i32 s88, s28, s28
	s_lshl_b64 s[50:51], s[50:51], 3
	s_lshl_b64 s[52:53], s[52:53], 3
	;; [unrolled: 1-line block ×7, first 2 shown]
	s_wait_alu 0xfffe
	s_lshl_b64 s[64:65], s[2:3], 3
	s_lshl_b64 s[66:67], s[66:67], 3
	;; [unrolled: 1-line block ×3, first 2 shown]
	s_branch .LBB3_4
.LBB3_2:                                ;   in Loop: Header=BB3_4 Depth=1
	s_or_b32 exec_lo, exec_lo, s95
.LBB3_3:                                ;   in Loop: Header=BB3_4 Depth=1
	s_wait_alu 0xfffe
	s_or_b32 exec_lo, exec_lo, s89
	s_add_co_i32 s70, s21, s70
	s_wait_alu 0xfffe
	s_cmp_ge_i32 s70, s33
	s_cbranch_scc1 .LBB3_119
.LBB3_4:                                ; =>This Loop Header: Depth=1
                                        ;     Child Loop BB3_8 Depth 2
                                        ;       Child Loop BB3_12 Depth 3
	s_and_saveexec_b32 s89, s0
	s_cbranch_execz .LBB3_3
; %bb.5:                                ;   in Loop: Header=BB3_4 Depth=1
	v_readlane_b32 s92, v140, 0
	v_readlane_b32 s93, v140, 1
	s_add_co_i32 s12, s70, s33
	v_mov_b32_e32 v64, v3
	s_wait_alu 0xfffe
	s_abs_i32 s26, s12
	s_add_co_i32 s13, s12, 1
	s_load_b32 s1, s[92:93], 0xc
	s_mul_u64 s[2:3], s[26:27], s[48:49]
	s_add_co_i32 s84, s12, -1
	s_wait_alu 0xfffe
	s_mul_i32 s2, s3, s76
	s_ashr_i32 s85, s12, 31
	s_wait_alu 0xfffe
	s_sub_co_i32 s2, s26, s2
	s_mov_b32 s95, 0
	s_wait_alu 0xfffe
	s_sub_co_i32 s3, s2, s76
	s_wait_kmcnt 0x0
	s_and_b32 s1, s1, 0xffff
	s_cmp_ge_u32 s2, s76
	s_wait_alu 0xfffe
	v_mad_co_u64_u32 v[16:17], null, ttmp9, s1, v[0:1]
	s_cselect_b32 s2, s3, s2
	s_wait_alu 0xfffe
	s_sub_co_i32 s3, s2, s76
	s_cmp_ge_u32 s2, s76
	s_wait_alu 0xfffe
	s_cselect_b32 s90, s3, s2
	s_not_b32 s2, s12
	s_wait_alu 0xfffe
	s_max_i32 s26, s13, s2
	s_ashr_i32 s13, s13, 31
	s_wait_alu 0xfffe
	s_mul_u64 s[2:3], s[26:27], s[48:49]
	s_wait_alu 0xfffe
	s_mul_i32 s2, s3, s76
	s_xor_b32 s3, s90, s85
	s_wait_alu 0xfffe
	s_sub_co_i32 s2, s26, s2
	s_sub_co_i32 s90, s3, s85
	s_wait_alu 0xfffe
	s_sub_co_i32 s3, s2, s76
	s_cmp_ge_u32 s2, s76
	s_load_b32 s85, s[92:93], 0x0
	s_cselect_b32 s2, s3, s2
	s_mul_i32 s90, s90, s72
	s_wait_alu 0xfffe
	s_sub_co_i32 s3, s2, s76
	s_cmp_ge_u32 s2, s76
	s_wait_alu 0xfffe
	s_cselect_b32 s91, s3, s2
	s_sub_co_i32 s2, 1, s12
	s_wait_alu 0xfffe
	s_xor_b32 s12, s91, s13
	s_max_i32 s26, s84, s2
	s_wait_alu 0xfffe
	s_sub_co_i32 s91, s12, s13
	s_mul_u64 s[2:3], s[26:27], s[48:49]
	s_ashr_i32 s2, s84, 31
	s_wait_alu 0xfffe
	s_mul_i32 s3, s3, s76
	s_mul_i32 s91, s91, s72
	s_wait_alu 0xfffe
	s_sub_co_i32 s3, s26, s3
	s_wait_alu 0xfffe
	s_sub_co_i32 s12, s3, s76
	s_cmp_ge_u32 s3, s76
	s_wait_alu 0xfffe
	s_cselect_b32 s3, s12, s3
	s_wait_kmcnt 0x0
	s_mul_i32 s26, s85, s1
	s_wait_alu 0xfffe
	s_sub_co_i32 s12, s3, s76
	s_cmp_ge_u32 s3, s76
	v_cmp_gt_i32_e64 s1, s71, v16
	s_wait_alu 0xfffe
	s_cselect_b32 s3, s12, s3
	s_wait_alu 0xfffe
	s_xor_b32 s3, s3, s2
	s_wait_alu 0xfffe
	s_sub_co_i32 s92, s3, s2
	s_mul_i32 s2, s74, 18
	s_wait_alu 0xfffe
	s_mul_i32 s92, s92, s72
	s_add_co_i32 s93, s91, s2
	s_mul_i32 s2, s74, 17
	s_wait_alu 0xfffe
	s_add_co_i32 s94, s74, s92
	s_add_co_i32 s96, s2, s92
	s_branch .LBB3_8
.LBB3_6:                                ;   in Loop: Header=BB3_8 Depth=2
	s_or_b32 exec_lo, exec_lo, s98
.LBB3_7:                                ;   in Loop: Header=BB3_8 Depth=2
	s_wait_alu 0xfffe
	s_or_b32 exec_lo, exec_lo, s97
	v_add_nc_u32_e32 v64, s20, v64
	s_delay_alu instid0(VALU_DEP_1)
	v_cmp_le_i32_e32 vcc_lo, s72, v64
	s_or_b32 s95, vcc_lo, s95
	s_wait_alu 0xfffe
	s_and_not1_b32 exec_lo, exec_lo, s95
	s_cbranch_execz .LBB3_2
.LBB3_8:                                ;   Parent Loop BB3_4 Depth=1
                                        ; =>  This Loop Header: Depth=2
                                        ;       Child Loop BB3_12 Depth 3
	s_and_saveexec_b32 s97, s1
	s_cbranch_execz .LBB3_7
; %bb.9:                                ;   in Loop: Header=BB3_8 Depth=2
	v_add_nc_u32_e32 v17, s72, v64
	s_mov_b32 s98, 0
	v_mov_b32_e32 v84, v16
	s_delay_alu instid0(VALU_DEP_2) | instskip(NEXT) | instid1(VALU_DEP_1)
	v_sub_nc_u32_e32 v18, 0, v17
	v_max_i32_e32 v18, v17, v18
	s_delay_alu instid0(VALU_DEP_1) | instskip(NEXT) | instid1(VALU_DEP_1)
	v_mul_hi_u32 v23, v18, s86
	v_mul_lo_u32 v23, v23, s75
	s_delay_alu instid0(VALU_DEP_1) | instskip(NEXT) | instid1(VALU_DEP_1)
	v_sub_nc_u32_e32 v18, v18, v23
	v_subrev_nc_u32_e32 v23, s75, v18
	v_cmp_le_u32_e32 vcc_lo, s75, v18
	s_wait_alu 0xfffd
	s_delay_alu instid0(VALU_DEP_2) | instskip(SKIP_2) | instid1(VALU_DEP_3)
	v_cndmask_b32_e32 v18, v18, v23, vcc_lo
	v_not_b32_e32 v21, v17
	v_sub_nc_u32_e32 v22, 1, v17
	v_subrev_nc_u32_e32 v23, s75, v18
	v_add_nc_u32_e32 v19, 1, v17
	s_delay_alu instid0(VALU_DEP_1) | instskip(NEXT) | instid1(VALU_DEP_1)
	v_max_i32_e32 v21, v19, v21
	v_mul_hi_u32 v24, v21, s86
	s_delay_alu instid0(VALU_DEP_1) | instskip(NEXT) | instid1(VALU_DEP_1)
	v_mul_lo_u32 v24, v24, s75
	v_sub_nc_u32_e32 v21, v21, v24
	s_delay_alu instid0(VALU_DEP_1)
	v_subrev_nc_u32_e32 v24, s75, v21
	v_cmp_le_u32_e32 vcc_lo, s75, v21
	v_add_nc_u32_e32 v20, -1, v17
	v_ashrrev_i32_e32 v17, 31, v17
	s_wait_alu 0xfffd
	v_cndmask_b32_e32 v21, v21, v24, vcc_lo
	s_delay_alu instid0(VALU_DEP_3) | instskip(SKIP_1) | instid1(VALU_DEP_3)
	v_max_i32_e32 v22, v20, v22
	v_ashrrev_i32_e32 v20, 31, v20
	v_subrev_nc_u32_e32 v24, s75, v21
	s_delay_alu instid0(VALU_DEP_3) | instskip(NEXT) | instid1(VALU_DEP_1)
	v_mul_hi_u32 v25, v22, s86
	v_mul_lo_u32 v25, v25, s75
	s_delay_alu instid0(VALU_DEP_1) | instskip(NEXT) | instid1(VALU_DEP_1)
	v_sub_nc_u32_e32 v22, v22, v25
	v_subrev_nc_u32_e32 v25, s75, v22
	v_cmp_le_u32_e32 vcc_lo, s75, v22
	s_wait_alu 0xfffd
	s_delay_alu instid0(VALU_DEP_2)
	v_cndmask_b32_e32 v22, v22, v25, vcc_lo
	v_cmp_le_u32_e32 vcc_lo, s75, v18
	s_wait_alu 0xfffd
	v_cndmask_b32_e32 v18, v18, v23, vcc_lo
	v_cmp_le_u32_e32 vcc_lo, s75, v21
	v_ashrrev_i32_e32 v19, 31, v19
	s_delay_alu instid0(VALU_DEP_3)
	v_xor_b32_e32 v18, v18, v17
	s_wait_alu 0xfffd
	v_cndmask_b32_e32 v21, v21, v24, vcc_lo
	v_subrev_nc_u32_e32 v25, s75, v22
	v_cmp_le_u32_e32 vcc_lo, s75, v22
	v_sub_nc_u32_e32 v17, v18, v17
	s_delay_alu instid0(VALU_DEP_4) | instskip(NEXT) | instid1(VALU_DEP_1)
	v_xor_b32_e32 v21, v21, v19
	v_sub_nc_u32_e32 v18, v21, v19
	s_wait_alu 0xfffd
	s_delay_alu instid0(VALU_DEP_1) | instskip(NEXT) | instid1(VALU_DEP_1)
	v_dual_cndmask_b32 v22, v22, v25 :: v_dual_add_nc_u32 v21, s90, v18
	v_xor_b32_e32 v22, v22, v20
	v_add_nc_u32_e32 v18, s78, v18
	s_delay_alu instid0(VALU_DEP_3) | instskip(NEXT) | instid1(VALU_DEP_3)
	v_mul_lo_u32 v25, v21, s71
	v_sub_nc_u32_e32 v19, v22, v20
	v_add_nc_u32_e32 v20, s90, v17
	v_add_nc_u32_e32 v22, s91, v17
	;; [unrolled: 1-line block ×5, first 2 shown]
	v_mul_lo_u32 v65, v20, s71
	v_add_nc_u32_e32 v20, s74, v20
	s_wait_alu 0xfffe
	v_add_nc_u32_e32 v24, s96, v19
	v_add_nc_u32_e32 v19, s93, v19
	v_mul_lo_u32 v26, v22, s71
	v_mul_lo_u32 v27, v23, s71
	;; [unrolled: 1-line block ×3, first 2 shown]
	v_add_nc_u32_e32 v18, s94, v18
	v_add_nc_u32_e32 v23, s80, v23
	;; [unrolled: 1-line block ×5, first 2 shown]
	v_mul_lo_u32 v67, v20, s71
	v_add_nc_u32_e32 v20, s79, v20
	v_mul_lo_u32 v66, v24, s71
	v_mul_lo_u32 v68, v29, s71
	;; [unrolled: 1-line block ×9, first 2 shown]
	v_add_nc_u32_e32 v74, s30, v25
	v_add_nc_u32_e32 v75, s34, v26
	;; [unrolled: 1-line block ×8, first 2 shown]
	s_branch .LBB3_12
.LBB3_10:                               ;   in Loop: Header=BB3_12 Depth=3
	s_wait_alu 0xfffe
	s_or_b32 exec_lo, exec_lo, s2
	v_add_co_u32 v39, vcc_lo, s6, v39
	v_add_nc_u32_e32 v17, s88, v17
	s_wait_alu 0xfffd
	v_add_co_ci_u32_e64 v40, null, s7, v40, vcc_lo
	s_lshl_b64 s[2:3], s[28:29], 3
	s_wait_alu 0xfffe
	v_add_co_u32 v61, vcc_lo, v39, s2
	v_add_nc_u32_e32 v57, s28, v17
	s_wait_alu 0xfffd
	v_add_co_ci_u32_e64 v62, null, s3, v40, vcc_lo
	v_ashrrev_i32_e32 v18, 31, v17
	s_clause 0x1
	global_store_b64 v[39:40], v[45:46], off
	global_store_b64 v[61:62], v[53:54], off
	v_ashrrev_i32_e32 v58, 31, v57
	v_add_nc_u32_e32 v45, s28, v57
	v_lshlrev_b64_e32 v[17:18], 3, v[17:18]
	s_delay_alu instid0(VALU_DEP_3) | instskip(NEXT) | instid1(VALU_DEP_3)
	v_lshlrev_b64_e32 v[39:40], 3, v[57:58]
	v_add_nc_u32_e32 v53, s28, v45
	v_ashrrev_i32_e32 v46, 31, v45
	s_delay_alu instid0(VALU_DEP_4)
	v_add_co_u32 v17, vcc_lo, s6, v17
	s_wait_alu 0xfffd
	v_add_co_ci_u32_e64 v18, null, s7, v18, vcc_lo
	v_add_nc_u32_e32 v57, s28, v53
	v_add_co_u32 v39, vcc_lo, s6, v39
	v_lshlrev_b64_e32 v[45:46], 3, v[45:46]
	s_wait_alu 0xfffd
	v_add_co_ci_u32_e64 v40, null, s7, v40, vcc_lo
	v_ashrrev_i32_e32 v54, 31, v53
	v_ashrrev_i32_e32 v58, 31, v57
	s_clause 0x1
	global_store_b64 v[17:18], v[47:48], off
	global_store_b64 v[39:40], v[49:50], off
	v_add_nc_u32_e32 v47, s28, v57
	v_add_co_u32 v39, vcc_lo, s6, v45
	v_lshlrev_b64_e32 v[17:18], 3, v[53:54]
	s_wait_alu 0xfffd
	v_add_co_ci_u32_e64 v40, null, s7, v46, vcc_lo
	v_lshlrev_b64_e32 v[45:46], 3, v[57:58]
	v_add_nc_u32_e32 v49, s28, v47
	v_ashrrev_i32_e32 v48, 31, v47
	v_add_co_u32 v17, vcc_lo, s6, v17
	s_wait_alu 0xfffd
	v_add_co_ci_u32_e64 v18, null, s7, v18, vcc_lo
	v_add_co_u32 v45, vcc_lo, s6, v45
	global_store_b64 v[39:40], v[29:30], off
	v_add_nc_u32_e32 v39, s28, v49
	s_wait_alu 0xfffd
	v_add_co_ci_u32_e64 v46, null, s7, v46, vcc_lo
	v_ashrrev_i32_e32 v50, 31, v49
	v_lshlrev_b64_e32 v[29:30], 3, v[47:48]
	s_clause 0x1
	global_store_b64 v[17:18], v[43:44], off
	global_store_b64 v[45:46], v[41:42], off
	v_add_nc_u32_e32 v41, s28, v39
	v_ashrrev_i32_e32 v40, 31, v39
	v_lshlrev_b64_e32 v[17:18], 3, v[49:50]
	v_add_co_u32 v29, vcc_lo, s6, v29
	s_delay_alu instid0(VALU_DEP_4) | instskip(SKIP_2) | instid1(VALU_DEP_4)
	v_add_nc_u32_e32 v43, s28, v41
	s_wait_alu 0xfffd
	v_add_co_ci_u32_e64 v30, null, s7, v30, vcc_lo
	v_add_co_u32 v17, vcc_lo, s6, v17
	v_ashrrev_i32_e32 v42, 31, v41
	s_wait_alu 0xfffd
	v_add_co_ci_u32_e64 v18, null, s7, v18, vcc_lo
	v_ashrrev_i32_e32 v44, 31, v43
	v_lshlrev_b64_e32 v[39:40], 3, v[39:40]
	s_clause 0x1
	global_store_b64 v[29:30], v[21:22], off
	global_store_b64 v[17:18], v[19:20], off
	v_lshlrev_b64_e32 v[17:18], 3, v[41:42]
	v_add_nc_u32_e32 v29, s28, v43
	v_lshlrev_b64_e32 v[21:22], 3, v[43:44]
	v_add_co_u32 v19, vcc_lo, s6, v39
	s_wait_alu 0xfffd
	v_add_co_ci_u32_e64 v20, null, s7, v40, vcc_lo
	v_add_co_u32 v17, vcc_lo, s6, v17
	s_wait_alu 0xfffd
	v_add_co_ci_u32_e64 v18, null, s7, v18, vcc_lo
	v_add_co_u32 v21, vcc_lo, s6, v21
	v_add_nc_u32_e32 v39, s28, v29
	s_wait_alu 0xfffd
	v_add_co_ci_u32_e64 v22, null, s7, v22, vcc_lo
	v_ashrrev_i32_e32 v30, 31, v29
	s_clause 0x2
	global_store_b64 v[19:20], v[37:38], off
	global_store_b64 v[17:18], v[33:34], off
	;; [unrolled: 1-line block ×3, first 2 shown]
	v_add_nc_u32_e32 v21, s28, v39
	v_ashrrev_i32_e32 v40, 31, v39
	v_lshlrev_b64_e32 v[19:20], 3, v[29:30]
	s_delay_alu instid0(VALU_DEP_3) | instskip(NEXT) | instid1(VALU_DEP_3)
	v_add_nc_u32_e32 v29, s28, v21
	v_lshlrev_b64_e32 v[17:18], 3, v[39:40]
	v_ashrrev_i32_e32 v22, 31, v21
	s_delay_alu instid0(VALU_DEP_4)
	v_add_co_u32 v19, vcc_lo, s6, v19
	s_wait_alu 0xfffd
	v_add_co_ci_u32_e64 v20, null, s7, v20, vcc_lo
	v_add_nc_u32_e32 v33, s28, v29
	v_add_co_u32 v17, vcc_lo, s6, v17
	s_wait_alu 0xfffd
	v_add_co_ci_u32_e64 v18, null, s7, v18, vcc_lo
	v_ashrrev_i32_e32 v30, 31, v29
	global_store_b64 v[19:20], v[59:60], off
	v_lshlrev_b64_e32 v[19:20], 3, v[21:22]
	v_ashrrev_i32_e32 v34, 31, v33
	v_add_nc_u32_e32 v21, s28, v33
	global_store_b64 v[17:18], v[51:52], off
	v_lshlrev_b64_e32 v[17:18], 3, v[29:30]
	v_lshlrev_b64_e32 v[29:30], 3, v[33:34]
	v_add_nc_u32_e32 v33, s28, v21
	v_ashrrev_i32_e32 v22, 31, v21
	v_add_co_u32 v19, vcc_lo, s6, v19
	s_wait_alu 0xfffd
	v_add_co_ci_u32_e64 v20, null, s7, v20, vcc_lo
	v_ashrrev_i32_e32 v34, 31, v33
	v_lshlrev_b64_e32 v[21:22], 3, v[21:22]
	v_add_co_u32 v17, vcc_lo, s6, v17
	s_wait_alu 0xfffd
	v_add_co_ci_u32_e64 v18, null, s7, v18, vcc_lo
	v_lshlrev_b64_e32 v[33:34], 3, v[33:34]
	v_add_co_u32 v29, vcc_lo, s6, v29
	s_wait_alu 0xfffd
	v_add_co_ci_u32_e64 v30, null, s7, v30, vcc_lo
	v_add_co_u32 v21, vcc_lo, s6, v21
	s_wait_alu 0xfffd
	v_add_co_ci_u32_e64 v22, null, s7, v22, vcc_lo
	;; [unrolled: 3-line block ×3, first 2 shown]
	s_clause 0x4
	global_store_b64 v[19:20], v[27:28], off
	global_store_b64 v[17:18], v[31:32], off
	;; [unrolled: 1-line block ×5, first 2 shown]
.LBB3_11:                               ;   in Loop: Header=BB3_12 Depth=3
	s_or_b32 exec_lo, exec_lo, s99
	v_add_nc_u32_e32 v84, s26, v84
	s_delay_alu instid0(VALU_DEP_1) | instskip(SKIP_1) | instid1(SALU_CYCLE_1)
	v_cmp_le_i32_e32 vcc_lo, s71, v84
	s_or_b32 s98, vcc_lo, s98
	s_and_not1_b32 exec_lo, exec_lo, s98
	s_cbranch_execz .LBB3_6
.LBB3_12:                               ;   Parent Loop BB3_4 Depth=1
                                        ;     Parent Loop BB3_8 Depth=2
                                        ; =>    This Inner Loop Header: Depth=3
	v_add_nc_u32_e32 v19, s71, v84
	s_mov_b32 s2, 0
	s_mov_b32 s3, exec_lo
	s_delay_alu instid0(VALU_DEP_1) | instskip(SKIP_1) | instid1(VALU_DEP_2)
	v_sub_nc_u32_e32 v17, 0, v19
	v_ashrrev_i32_e32 v20, 31, v19
	v_max_i32_e32 v17, v19, v17
	s_delay_alu instid0(VALU_DEP_1) | instskip(NEXT) | instid1(VALU_DEP_1)
	v_mul_hi_u32 v18, v17, s87
	v_mul_lo_u32 v18, v18, s77
	s_delay_alu instid0(VALU_DEP_1) | instskip(NEXT) | instid1(VALU_DEP_1)
	v_sub_nc_u32_e32 v17, v17, v18
	v_subrev_nc_u32_e32 v18, s77, v17
	v_cmp_le_u32_e32 vcc_lo, s77, v17
	s_wait_alu 0xfffd
	s_delay_alu instid0(VALU_DEP_2) | instskip(NEXT) | instid1(VALU_DEP_1)
	v_cndmask_b32_e32 v17, v17, v18, vcc_lo
	v_subrev_nc_u32_e32 v18, s77, v17
	v_cmp_le_u32_e32 vcc_lo, s77, v17
	s_wait_alu 0xfffd
	s_delay_alu instid0(VALU_DEP_2) | instskip(NEXT) | instid1(VALU_DEP_1)
	v_cndmask_b32_e32 v17, v17, v18, vcc_lo
	v_xor_b32_e32 v17, v17, v20
	s_delay_alu instid0(VALU_DEP_1) | instskip(NEXT) | instid1(VALU_DEP_1)
	v_sub_nc_u32_e32 v23, v17, v20
	v_add_nc_u32_e32 v17, v65, v23
	s_delay_alu instid0(VALU_DEP_1) | instskip(SKIP_2) | instid1(VALU_DEP_2)
	v_ashrrev_i32_e32 v18, 31, v17
	v_add_co_u32 v20, vcc_lo, s8, v17
	s_wait_alu 0xfffd
	v_add_co_ci_u32_e64 v21, null, s9, v18, vcc_lo
	global_load_u8 v57, v[20:21], off
	s_wait_loadcnt 0x0
	v_cmpx_lt_i16_e32 9, v57
	s_wait_alu 0xfffe
	s_xor_b32 s3, exec_lo, s3
	s_cbranch_execnz .LBB3_15
; %bb.13:                               ;   in Loop: Header=BB3_12 Depth=3
	s_wait_alu 0xfffe
	s_and_not1_saveexec_b32 s3, s3
	s_cbranch_execnz .LBB3_16
.LBB3_14:                               ;   in Loop: Header=BB3_12 Depth=3
	s_wait_alu 0xfffe
	s_or_b32 exec_lo, exec_lo, s3
	s_and_saveexec_b32 s99, s2
	s_cbranch_execz .LBB3_11
	s_branch .LBB3_17
.LBB3_15:                               ;   in Loop: Header=BB3_12 Depth=3
	v_cmp_ne_u16_e32 vcc_lo, 10, v57
	s_and_b32 s2, vcc_lo, exec_lo
	s_wait_alu 0xfffe
	s_and_not1_saveexec_b32 s3, s3
	s_cbranch_execz .LBB3_14
.LBB3_16:                               ;   in Loop: Header=BB3_12 Depth=3
	v_cmp_ne_u16_e32 vcc_lo, 4, v57
	s_and_not1_b32 s2, s2, exec_lo
	s_and_b32 s12, vcc_lo, exec_lo
	s_wait_alu 0xfffe
	s_or_b32 s2, s2, s12
	s_or_b32 exec_lo, exec_lo, s3
	s_wait_alu 0xfffe
	s_and_saveexec_b32 s99, s2
	s_cbranch_execz .LBB3_11
.LBB3_17:                               ;   in Loop: Header=BB3_12 Depth=3
	v_add_nc_u32_e32 v22, 1, v19
	v_not_b32_e32 v20, v19
	v_add_nc_u32_e32 v27, -1, v19
	v_sub_nc_u32_e32 v19, 1, v19
	v_lshlrev_b64_e32 v[39:40], 3, v[17:18]
	v_bfe_i32 v85, v57, 0, 8
	v_max_i32_e32 v21, v22, v20
	v_ashrrev_i32_e32 v37, 31, v27
	v_max_i32_e32 v28, v27, v19
	v_add_co_u32 v19, vcc_lo, s24, v17
	s_delay_alu instid0(VALU_DEP_4) | instskip(SKIP_1) | instid1(VALU_DEP_4)
	v_mul_hi_u32 v20, v21, s87
	v_lshlrev_b64_e32 v[57:58], 2, v[17:18]
	v_mul_hi_u32 v25, v28, s87
	s_mov_b32 s2, exec_lo
	s_delay_alu instid0(VALU_DEP_3) | instskip(SKIP_2) | instid1(VALU_DEP_3)
	v_mul_lo_u32 v24, v20, s77
	s_wait_alu 0xfffd
	v_add_co_ci_u32_e64 v20, null, s25, v18, vcc_lo
	v_mul_lo_u32 v31, v25, s77
	global_load_u8 v86, v[19:20], off
	v_sub_nc_u32_e32 v29, v21, v24
	v_add_nc_u32_e32 v21, v23, v74
	v_add_nc_u32_e32 v24, v23, v75
	v_sub_nc_u32_e32 v27, v28, v31
	s_delay_alu instid0(VALU_DEP_4) | instskip(SKIP_1) | instid1(VALU_DEP_4)
	v_subrev_nc_u32_e32 v30, s77, v29
	v_cmp_le_u32_e32 vcc_lo, s77, v29
	v_ashrrev_i32_e32 v25, 31, v24
	s_wait_alu 0xfffd
	s_delay_alu instid0(VALU_DEP_3) | instskip(SKIP_3) | instid1(VALU_DEP_3)
	v_cndmask_b32_e32 v29, v29, v30, vcc_lo
	v_add_co_u32 v61, vcc_lo, s4, v39
	s_wait_alu 0xfffd
	v_add_co_ci_u32_e64 v62, null, s5, v40, vcc_lo
	v_subrev_nc_u32_e32 v28, s77, v29
	v_cmp_le_u32_e32 vcc_lo, s77, v29
	v_ashrrev_i32_e32 v32, 31, v22
	v_ashrrev_i32_e32 v22, 31, v21
	v_subrev_nc_u32_e32 v30, s77, v27
	global_load_b64 v[45:46], v[61:62], off
	s_wait_alu 0xfffd
	v_cndmask_b32_e32 v28, v29, v28, vcc_lo
	v_cmp_le_u32_e32 vcc_lo, s77, v27
	v_lshlrev_b64_e32 v[19:20], 3, v[21:22]
	v_lshlrev_b64_e32 v[21:22], 3, v[24:25]
	v_add_nc_u32_e32 v26, v68, v23
	v_xor_b32_e32 v24, v28, v32
	s_wait_alu 0xfffd
	v_cndmask_b32_e32 v25, v27, v30, vcc_lo
	v_add_co_u32 v19, vcc_lo, s4, v19
	s_delay_alu instid0(VALU_DEP_3)
	v_sub_nc_u32_e32 v28, v24, v32
	s_wait_alu 0xfffd
	v_add_co_ci_u32_e64 v20, null, s5, v20, vcc_lo
	v_add_co_u32 v21, vcc_lo, s4, v21
	v_subrev_nc_u32_e32 v27, s77, v25
	s_wait_alu 0xfffd
	v_add_co_ci_u32_e64 v22, null, s5, v22, vcc_lo
	v_cmp_le_u32_e32 vcc_lo, s77, v25
	v_add_nc_u32_e32 v24, v28, v67
	v_add_nc_u32_e32 v29, v28, v77
	;; [unrolled: 1-line block ×4, first 2 shown]
	s_wait_alu 0xfffd
	v_dual_cndmask_b32 v38, v25, v27 :: v_dual_add_nc_u32 v27, v28, v76
	v_ashrrev_i32_e32 v25, 31, v24
	v_ashrrev_i32_e32 v30, 31, v29
	;; [unrolled: 1-line block ×5, first 2 shown]
	v_lshlrev_b64_e32 v[24:25], 3, v[24:25]
	v_lshlrev_b64_e32 v[35:36], 3, v[29:30]
	;; [unrolled: 1-line block ×3, first 2 shown]
	s_delay_alu instid0(VALU_DEP_4) | instskip(NEXT) | instid1(VALU_DEP_4)
	v_lshlrev_b64_e32 v[27:28], 3, v[27:28]
	v_add_co_u32 v24, vcc_lo, s4, v24
	s_wait_alu 0xfffd
	v_add_co_ci_u32_e64 v25, null, s5, v25, vcc_lo
	s_delay_alu instid0(VALU_DEP_3)
	v_add_co_u32 v27, vcc_lo, s4, v27
	s_wait_alu 0xfffd
	v_add_co_ci_u32_e64 v28, null, s5, v28, vcc_lo
	s_clause 0x3
	global_load_b64 v[53:54], v[24:25], off
	global_load_b64 v[47:48], v[19:20], off
	global_load_b64 v[49:50], v[21:22], off
	global_load_b64 v[29:30], v[27:28], off
	v_ashrrev_i32_e32 v27, 31, v26
	v_xor_b32_e32 v28, v38, v37
	v_lshlrev_b64_e32 v[21:22], 3, v[33:34]
	v_add_co_u32 v19, vcc_lo, s4, v35
	s_delay_alu instid0(VALU_DEP_4) | instskip(NEXT) | instid1(VALU_DEP_4)
	v_lshlrev_b64_e32 v[26:27], 3, v[26:27]
	v_sub_nc_u32_e32 v28, v28, v37
	s_wait_alu 0xfffd
	v_add_co_ci_u32_e64 v20, null, s5, v36, vcc_lo
	v_add_co_u32 v24, vcc_lo, s4, v31
	s_wait_alu 0xfffd
	v_add_co_ci_u32_e64 v25, null, s5, v32, vcc_lo
	v_add_nc_u32_e32 v31, v69, v23
	v_add_co_u32 v21, vcc_lo, s4, v21
	s_wait_alu 0xfffd
	v_add_co_ci_u32_e64 v22, null, s5, v22, vcc_lo
	v_add_nc_u32_e32 v33, v28, v80
	;; [unrolled: 4-line block ×3, first 2 shown]
	v_ashrrev_i32_e32 v32, 31, v31
	s_clause 0x3
	global_load_b64 v[43:44], v[19:20], off
	global_load_b64 v[41:42], v[24:25], off
	;; [unrolled: 1-line block ×4, first 2 shown]
	v_add_nc_u32_e32 v26, v23, v83
	v_ashrrev_i32_e32 v34, 31, v33
	v_ashrrev_i32_e32 v36, 31, v35
	v_lshlrev_b64_e32 v[31:32], 3, v[31:32]
	v_add_nc_u32_e32 v55, v28, v71
	v_ashrrev_i32_e32 v27, 31, v26
	v_lshlrev_b64_e32 v[24:25], 3, v[33:34]
	v_lshlrev_b64_e32 v[33:34], 3, v[35:36]
	v_add_nc_u32_e32 v35, v28, v70
	v_add_co_u32 v31, vcc_lo, s4, v31
	v_lshlrev_b64_e32 v[26:27], 3, v[26:27]
	s_wait_alu 0xfffd
	v_add_co_ci_u32_e64 v32, null, s5, v32, vcc_lo
	v_add_co_u32 v24, vcc_lo, s4, v24
	s_wait_alu 0xfffd
	v_add_co_ci_u32_e64 v25, null, s5, v25, vcc_lo
	v_add_co_u32 v51, vcc_lo, s4, v33
	v_ashrrev_i32_e32 v36, 31, v35
	s_wait_alu 0xfffd
	v_add_co_ci_u32_e64 v52, null, s5, v34, vcc_lo
	v_add_co_u32 v26, vcc_lo, s4, v26
	s_wait_alu 0xfffd
	v_add_co_ci_u32_e64 v27, null, s5, v27, vcc_lo
	v_add_nc_u32_e32 v89, v28, v72
	v_lshlrev_b64_e32 v[87:88], 3, v[35:36]
	s_clause 0x3
	global_load_b64 v[37:38], v[31:32], off
	global_load_b64 v[33:34], v[24:25], off
	;; [unrolled: 1-line block ×4, first 2 shown]
	v_add_nc_u32_e32 v26, v28, v73
	v_ashrrev_i32_e32 v56, 31, v55
	v_ashrrev_i32_e32 v90, 31, v89
	v_add_co_u32 v31, vcc_lo, s4, v87
	s_delay_alu instid0(VALU_DEP_4) | instskip(NEXT) | instid1(VALU_DEP_4)
	v_ashrrev_i32_e32 v27, 31, v26
	v_lshlrev_b64_e32 v[24:25], 3, v[55:56]
	v_add_nc_u32_e32 v55, v66, v23
	v_lshlrev_b64_e32 v[51:52], 3, v[89:90]
	v_add_nc_u32_e32 v87, v81, v23
	v_lshlrev_b64_e32 v[26:27], 3, v[26:27]
	s_wait_alu 0xfffd
	v_add_co_ci_u32_e64 v32, null, s5, v88, vcc_lo
	v_ashrrev_i32_e32 v56, 31, v55
	v_add_co_u32 v24, vcc_lo, s4, v24
	v_ashrrev_i32_e32 v88, 31, v87
	s_wait_alu 0xfffd
	v_add_co_ci_u32_e64 v25, null, s5, v25, vcc_lo
	v_add_co_u32 v89, vcc_lo, s4, v51
	s_wait_alu 0xfffd
	v_add_co_ci_u32_e64 v90, null, s5, v52, vcc_lo
	v_lshlrev_b64_e32 v[51:52], 3, v[55:56]
	v_add_co_u32 v55, vcc_lo, s4, v26
	s_wait_alu 0xfffd
	v_add_co_ci_u32_e64 v56, null, s5, v27, vcc_lo
	v_lshlrev_b64_e32 v[26:27], 3, v[87:88]
	s_delay_alu instid0(VALU_DEP_4) | instskip(SKIP_2) | instid1(VALU_DEP_3)
	v_add_co_u32 v87, vcc_lo, s4, v51
	s_wait_alu 0xfffd
	v_add_co_ci_u32_e64 v88, null, s5, v52, vcc_lo
	v_add_co_u32 v91, vcc_lo, s4, v26
	s_wait_alu 0xfffd
	v_add_co_ci_u32_e64 v92, null, s5, v27, vcc_lo
	s_clause 0x5
	global_load_b64 v[51:52], v[31:32], off
	global_load_b64 v[27:28], v[24:25], off
	;; [unrolled: 1-line block ×6, first 2 shown]
	v_and_b32_e32 v87, -2, v85
	s_delay_alu instid0(VALU_DEP_1)
	v_cmpx_eq_u16_e32 2, v87
	s_cbranch_execz .LBB3_55
; %bb.18:                               ;   in Loop: Header=BB3_12 Depth=3
	v_add_co_u32 v87, vcc_lo, s10, v57
	s_wait_alu 0xfffd
	v_add_co_ci_u32_e64 v88, null, s11, v58, vcc_lo
	s_mov_b32 s3, exec_lo
	global_load_b32 v18, v[87:88], off
	s_wait_loadcnt 0x0
	v_and_b32_e32 v87, 2, v18
	s_delay_alu instid0(VALU_DEP_1)
	v_cmpx_ne_u32_e32 0, v87
	s_cbranch_execz .LBB3_20
; %bb.19:                               ;   in Loop: Header=BB3_12 Depth=3
	v_add_co_u32 v53, vcc_lo, v61, s50
	s_wait_alu 0xfffd
	v_add_co_ci_u32_e64 v54, null, s51, v62, vcc_lo
	global_load_b64 v[53:54], v[53:54], off
.LBB3_20:                               ;   in Loop: Header=BB3_12 Depth=3
	s_wait_alu 0xfffe
	s_or_b32 exec_lo, exec_lo, s3
	v_and_b32_e32 v87, 4, v18
	s_mov_b32 s3, exec_lo
	s_delay_alu instid0(VALU_DEP_1)
	v_cmpx_ne_u32_e32 0, v87
	s_cbranch_execz .LBB3_22
; %bb.21:                               ;   in Loop: Header=BB3_12 Depth=3
	s_lshl_b64 s[12:13], s[44:45], 3
	s_wait_alu 0xfffe
	v_add_co_u32 v47, vcc_lo, v61, s12
	s_wait_alu 0xfffd
	v_add_co_ci_u32_e64 v48, null, s13, v62, vcc_lo
	global_load_b64 v[47:48], v[47:48], off
.LBB3_22:                               ;   in Loop: Header=BB3_12 Depth=3
	s_wait_alu 0xfffe
	s_or_b32 exec_lo, exec_lo, s3
	v_and_b32_e32 v87, 8, v18
	s_mov_b32 s3, exec_lo
	s_delay_alu instid0(VALU_DEP_1)
	v_cmpx_ne_u32_e32 0, v87
	s_cbranch_execz .LBB3_24
; %bb.23:                               ;   in Loop: Header=BB3_12 Depth=3
	s_lshl_b64 s[12:13], s[46:47], 3
	s_wait_alu 0xfffe
	v_add_co_u32 v49, vcc_lo, v61, s12
	s_wait_alu 0xfffd
	v_add_co_ci_u32_e64 v50, null, s13, v62, vcc_lo
	global_load_b64 v[49:50], v[49:50], off
.LBB3_24:                               ;   in Loop: Header=BB3_12 Depth=3
	s_wait_alu 0xfffe
	s_or_b32 exec_lo, exec_lo, s3
	v_and_b32_e32 v87, 16, v18
	s_mov_b32 s3, exec_lo
	s_delay_alu instid0(VALU_DEP_1)
	v_cmpx_ne_u32_e32 0, v87
	s_cbranch_execz .LBB3_26
; %bb.25:                               ;   in Loop: Header=BB3_12 Depth=3
	v_add_co_u32 v29, vcc_lo, v61, s52
	s_wait_alu 0xfffd
	v_add_co_ci_u32_e64 v30, null, s53, v62, vcc_lo
	global_load_b64 v[29:30], v[29:30], off
.LBB3_26:                               ;   in Loop: Header=BB3_12 Depth=3
	s_wait_alu 0xfffe
	s_or_b32 exec_lo, exec_lo, s3
	v_and_b32_e32 v87, 32, v18
	s_mov_b32 s3, exec_lo
	s_delay_alu instid0(VALU_DEP_1)
	v_cmpx_ne_u32_e32 0, v87
	s_cbranch_execz .LBB3_28
; %bb.27:                               ;   in Loop: Header=BB3_12 Depth=3
	v_add_co_u32 v43, vcc_lo, v61, s54
	s_wait_alu 0xfffd
	v_add_co_ci_u32_e64 v44, null, s55, v62, vcc_lo
	global_load_b64 v[43:44], v[43:44], off
.LBB3_28:                               ;   in Loop: Header=BB3_12 Depth=3
	;; [unrolled: 13-line block ×7, first 2 shown]
	s_wait_alu 0xfffe
	s_or_b32 exec_lo, exec_lo, s3
	v_and_b32_e32 v87, 0x800, v18
	s_mov_b32 s3, exec_lo
	s_delay_alu instid0(VALU_DEP_1)
	v_cmpx_ne_u32_e32 0, v87
	s_cbranch_execz .LBB3_40
; %bb.39:                               ;   in Loop: Header=BB3_12 Depth=3
	s_lshl_b64 s[12:13], s[30:31], 3
	s_wait_alu 0xfffe
	v_add_co_u32 v35, vcc_lo, v61, s12
	s_wait_alu 0xfffd
	v_add_co_ci_u32_e64 v36, null, s13, v62, vcc_lo
	global_load_b64 v[35:36], v[35:36], off
.LBB3_40:                               ;   in Loop: Header=BB3_12 Depth=3
	s_wait_alu 0xfffe
	s_or_b32 exec_lo, exec_lo, s3
	v_and_b32_e32 v87, 0x1000, v18
	s_mov_b32 s3, exec_lo
	s_delay_alu instid0(VALU_DEP_1)
	v_cmpx_ne_u32_e32 0, v87
	s_cbranch_execz .LBB3_42
; %bb.41:                               ;   in Loop: Header=BB3_12 Depth=3
	s_lshl_b64 s[12:13], s[34:35], 3
	s_wait_alu 0xfffe
	v_add_co_u32 v59, vcc_lo, v61, s12
	s_wait_alu 0xfffd
	v_add_co_ci_u32_e64 v60, null, s13, v62, vcc_lo
	global_load_b64 v[59:60], v[59:60], off
.LBB3_42:                               ;   in Loop: Header=BB3_12 Depth=3
	s_wait_alu 0xfffe
	s_or_b32 exec_lo, exec_lo, s3
	v_and_b32_e32 v87, 0x2000, v18
	s_mov_b32 s3, exec_lo
	s_delay_alu instid0(VALU_DEP_1)
	v_cmpx_ne_u32_e32 0, v87
	s_cbranch_execz .LBB3_44
; %bb.43:                               ;   in Loop: Header=BB3_12 Depth=3
	s_lshl_b64 s[12:13], s[36:37], 3
	s_wait_alu 0xfffe
	v_add_co_u32 v51, vcc_lo, v61, s12
	s_wait_alu 0xfffd
	v_add_co_ci_u32_e64 v52, null, s13, v62, vcc_lo
	global_load_b64 v[51:52], v[51:52], off
.LBB3_44:                               ;   in Loop: Header=BB3_12 Depth=3
	s_wait_alu 0xfffe
	s_or_b32 exec_lo, exec_lo, s3
	v_and_b32_e32 v87, 0x4000, v18
	s_mov_b32 s3, exec_lo
	s_delay_alu instid0(VALU_DEP_1)
	v_cmpx_ne_u32_e32 0, v87
	s_cbranch_execz .LBB3_46
; %bb.45:                               ;   in Loop: Header=BB3_12 Depth=3
	s_lshl_b64 s[12:13], s[38:39], 3
	s_wait_alu 0xfffe
	v_add_co_u32 v27, vcc_lo, v61, s12
	s_wait_alu 0xfffd
	v_add_co_ci_u32_e64 v28, null, s13, v62, vcc_lo
	global_load_b64 v[27:28], v[27:28], off
.LBB3_46:                               ;   in Loop: Header=BB3_12 Depth=3
	s_wait_alu 0xfffe
	s_or_b32 exec_lo, exec_lo, s3
	v_and_b32_e32 v87, 0x8000, v18
	s_mov_b32 s3, exec_lo
	s_delay_alu instid0(VALU_DEP_1)
	v_cmpx_ne_u32_e32 0, v87
	s_cbranch_execz .LBB3_48
; %bb.47:                               ;   in Loop: Header=BB3_12 Depth=3
	s_lshl_b64 s[12:13], s[40:41], 3
	s_wait_alu 0xfffe
	v_add_co_u32 v31, vcc_lo, v61, s12
	s_wait_alu 0xfffd
	v_add_co_ci_u32_e64 v32, null, s13, v62, vcc_lo
	global_load_b64 v[31:32], v[31:32], off
.LBB3_48:                               ;   in Loop: Header=BB3_12 Depth=3
	s_wait_alu 0xfffe
	s_or_b32 exec_lo, exec_lo, s3
	v_and_b32_e32 v87, 0x10000, v18
	s_mov_b32 s3, exec_lo
	s_delay_alu instid0(VALU_DEP_1)
	v_cmpx_ne_u32_e32 0, v87
	s_cbranch_execz .LBB3_50
; %bb.49:                               ;   in Loop: Header=BB3_12 Depth=3
	s_lshl_b64 s[12:13], s[42:43], 3
	s_wait_alu 0xfffe
	v_add_co_u32 v25, vcc_lo, v61, s12
	s_wait_alu 0xfffd
	v_add_co_ci_u32_e64 v26, null, s13, v62, vcc_lo
	global_load_b64 v[25:26], v[25:26], off
.LBB3_50:                               ;   in Loop: Header=BB3_12 Depth=3
	s_wait_alu 0xfffe
	s_or_b32 exec_lo, exec_lo, s3
	v_and_b32_e32 v87, 0x20000, v18
	s_mov_b32 s3, exec_lo
	s_delay_alu instid0(VALU_DEP_1)
	v_cmpx_ne_u32_e32 0, v87
	s_cbranch_execz .LBB3_52
; %bb.51:                               ;   in Loop: Header=BB3_12 Depth=3
	v_add_co_u32 v55, vcc_lo, v61, s66
	s_wait_alu 0xfffd
	v_add_co_ci_u32_e64 v56, null, s67, v62, vcc_lo
	global_load_b64 v[55:56], v[55:56], off
.LBB3_52:                               ;   in Loop: Header=BB3_12 Depth=3
	s_wait_alu 0xfffe
	s_or_b32 exec_lo, exec_lo, s3
	v_and_b32_e32 v18, 0x40000, v18
	s_mov_b32 s3, exec_lo
	s_delay_alu instid0(VALU_DEP_1)
	v_cmpx_ne_u32_e32 0, v18
	s_cbranch_execz .LBB3_54
; %bb.53:                               ;   in Loop: Header=BB3_12 Depth=3
	v_add_co_u32 v23, vcc_lo, v61, s68
	s_wait_alu 0xfffd
	v_add_co_ci_u32_e64 v24, null, s69, v62, vcc_lo
	global_load_b64 v[23:24], v[23:24], off
.LBB3_54:                               ;   in Loop: Header=BB3_12 Depth=3
	s_wait_alu 0xfffe
	s_or_b32 exec_lo, exec_lo, s3
.LBB3_55:                               ;   in Loop: Header=BB3_12 Depth=3
	s_wait_alu 0xfffe
	s_or_b32 exec_lo, exec_lo, s2
	s_delay_alu instid0(SALU_CYCLE_1)
	s_mov_b32 s100, exec_lo
	v_cmpx_eq_u16_e32 2, v85
	s_cbranch_execz .LBB3_79
; %bb.56:                               ;   in Loop: Header=BB3_12 Depth=3
	s_wait_loadcnt 0x13
	v_and_b32_e32 v18, 0xff, v86
	s_mov_b32 s2, 0
	s_mov_b32 s3, exec_lo
	s_delay_alu instid0(VALU_DEP_1)
	v_cmpx_lt_i16_e32 2, v18
	s_wait_alu 0xfffe
	s_xor_b32 s3, exec_lo, s3
	s_cbranch_execnz .LBB3_83
; %bb.57:                               ;   in Loop: Header=BB3_12 Depth=3
	s_wait_alu 0xfffe
	s_and_not1_saveexec_b32 s3, s3
	s_cbranch_execnz .LBB3_84
.LBB3_58:                               ;   in Loop: Header=BB3_12 Depth=3
	s_wait_alu 0xfffe
	s_or_b32 exec_lo, exec_lo, s3
	s_and_saveexec_b32 s3, s2
	s_cbranch_execz .LBB3_60
.LBB3_59:                               ;   in Loop: Header=BB3_12 Depth=3
	s_wait_loadcnt 0x0
	v_add_f64_e32 v[29:30], v[6:7], v[29:30]
.LBB3_60:                               ;   in Loop: Header=BB3_12 Depth=3
	s_wait_alu 0xfffe
	s_or_b32 exec_lo, exec_lo, s3
	s_mov_b32 s84, 0
	s_mov_b32 s2, 0
	s_mov_b32 s3, exec_lo
	v_cmpx_lt_i16_e32 3, v18
	s_wait_alu 0xfffe
	s_xor_b32 s3, exec_lo, s3
	s_cbranch_execnz .LBB3_87
; %bb.61:                               ;   in Loop: Header=BB3_12 Depth=3
	s_wait_alu 0xfffe
	s_and_not1_saveexec_b32 s3, s3
	s_cbranch_execnz .LBB3_90
.LBB3_62:                               ;   in Loop: Header=BB3_12 Depth=3
	s_wait_alu 0xfffe
	s_or_b32 exec_lo, exec_lo, s3
	s_and_saveexec_b32 s3, s84
	s_cbranch_execnz .LBB3_91
.LBB3_63:                               ;   in Loop: Header=BB3_12 Depth=3
	s_wait_alu 0xfffe
	s_or_b32 exec_lo, exec_lo, s3
	s_and_saveexec_b32 s3, s2
	s_cbranch_execz .LBB3_65
.LBB3_64:                               ;   in Loop: Header=BB3_12 Depth=3
	s_wait_loadcnt 0x0
	v_add_f64_e32 v[21:22], v[6:7], v[21:22]
.LBB3_65:                               ;   in Loop: Header=BB3_12 Depth=3
	s_wait_alu 0xfffe
	s_or_b32 exec_lo, exec_lo, s3
	v_add_nc_u16 v61, v86, -3
	v_add_nc_u16 v62, v86, -1
	s_mov_b32 s103, 0
	s_mov_b32 s104, 0
	;; [unrolled: 1-line block ×3, first 2 shown]
	v_and_b32_e32 v61, 0xff, v61
	v_and_b32_e32 v62, 0xff, v62
	s_mov_b32 s101, 0
	s_mov_b32 s12, exec_lo
	s_delay_alu instid0(VALU_DEP_2) | instskip(NEXT) | instid1(VALU_DEP_2)
	v_cmp_gt_u16_e64 s2, 2, v61
	v_cmp_gt_u16_e32 vcc_lo, 2, v62
                                        ; implicit-def: $vgpr61_vgpr62
	v_cmpx_lt_i16_e32 2, v18
	s_wait_alu 0xfffe
	s_xor_b32 vcc_hi, exec_lo, s12
	s_cbranch_execnz .LBB3_96
; %bb.66:                               ;   in Loop: Header=BB3_12 Depth=3
	s_wait_alu 0xfffe
	s_and_not1_saveexec_b32 vcc_hi, vcc_hi
	s_cbranch_execnz .LBB3_103
.LBB3_67:                               ;   in Loop: Header=BB3_12 Depth=3
	s_wait_alu 0xfffe
	s_or_b32 exec_lo, exec_lo, vcc_hi
	s_and_saveexec_b32 s84, s104
	s_cbranch_execz .LBB3_69
.LBB3_68:                               ;   in Loop: Header=BB3_12 Depth=3
	s_wait_loadcnt 0x0
	v_add_f64_e32 v[27:28], v[10:11], v[27:28]
	v_and_b32_e32 v61, 0xff, v86
	s_and_not1_b32 s12, s102, exec_lo
	s_delay_alu instid0(VALU_DEP_1)
	v_cmp_eq_u16_e64 s3, 0, v61
	v_dual_mov_b32 v62, v60 :: v_dual_mov_b32 v61, v59
	s_and_b32 s3, s3, exec_lo
	s_wait_alu 0xfffe
	s_or_b32 s102, s12, s3
.LBB3_69:                               ;   in Loop: Header=BB3_12 Depth=3
	s_or_b32 exec_lo, exec_lo, s84
	s_mov_b32 s104, 0
	s_mov_b32 vcc_hi, 0
	s_and_saveexec_b32 s84, s102
	s_cbranch_execz .LBB3_73
; %bb.70:                               ;   in Loop: Header=BB3_12 Depth=3
	s_mov_b32 s85, -1
	s_mov_b32 s102, s103
	s_mov_b32 vcc_hi, exec_lo
	v_cmpx_lt_i16_e32 3, v18
; %bb.71:                               ;   in Loop: Header=BB3_12 Depth=3
	v_cmp_eq_u16_e64 s3, 4, v18
	s_and_not1_b32 s12, s103, exec_lo
	s_xor_b32 s85, exec_lo, -1
	s_and_b32 s3, s3, exec_lo
	s_wait_alu 0xfffe
	s_or_b32 s102, s12, s3
; %bb.72:                               ;   in Loop: Header=BB3_12 Depth=3
	s_or_b32 exec_lo, exec_lo, vcc_hi
	s_wait_loadcnt 0x0
	v_add_f64_e32 v[14:15], v[12:13], v[31:32]
	s_and_not1_b32 s3, s103, exec_lo
	s_and_b32 s12, s102, exec_lo
	v_mov_b32_e32 v63, v18
	s_and_b32 vcc_hi, s85, exec_lo
	s_wait_alu 0xfffe
	s_or_b32 s103, s3, s12
	s_delay_alu instid0(VALU_DEP_2)
	v_dual_mov_b32 v32, v15 :: v_dual_mov_b32 v31, v14
.LBB3_73:                               ;   in Loop: Header=BB3_12 Depth=3
	s_or_b32 exec_lo, exec_lo, s84
	s_wait_loadcnt 0x0
	v_dual_mov_b32 v60, v56 :: v_dual_mov_b32 v59, v55
	s_and_saveexec_b32 s84, s103
	s_cbranch_execnz .LBB3_116
; %bb.74:                               ;   in Loop: Header=BB3_12 Depth=3
	s_or_b32 exec_lo, exec_lo, s84
	s_wait_alu 0xfffe
	s_and_saveexec_b32 s84, vcc_hi
	s_cbranch_execnz .LBB3_117
.LBB3_75:                               ;   in Loop: Header=BB3_12 Depth=3
	s_or_b32 exec_lo, exec_lo, s84
	s_and_saveexec_b32 s84, s101
	s_cbranch_execnz .LBB3_118
.LBB3_76:                               ;   in Loop: Header=BB3_12 Depth=3
	s_or_b32 exec_lo, exec_lo, s84
	s_and_saveexec_b32 s3, s104
	s_cbranch_execz .LBB3_78
.LBB3_77:                               ;   in Loop: Header=BB3_12 Depth=3
	v_add_f64_e32 v[23:24], 0, v[23:24]
.LBB3_78:                               ;   in Loop: Header=BB3_12 Depth=3
	s_wait_alu 0xfffe
	s_or_b32 exec_lo, exec_lo, s3
	v_add_f64_e32 v[86:87], 0, v[37:38]
	v_add_f64_e32 v[88:89], v[6:7], v[43:44]
	s_delay_alu instid0(VALU_DEP_3) | instskip(SKIP_1) | instid1(VALU_DEP_4)
	v_dual_mov_b32 v55, v59 :: v_dual_mov_b32 v56, v60
	v_dual_mov_b32 v59, v61 :: v_dual_mov_b32 v60, v62
	v_cndmask_b32_e64 v38, v38, v87, s2
	v_cndmask_b32_e64 v37, v37, v86, s2
	v_dual_cndmask_b32 v44, v44, v89 :: v_dual_cndmask_b32 v43, v43, v88
.LBB3_79:                               ;   in Loop: Header=BB3_12 Depth=3
	s_or_b32 exec_lo, exec_lo, s100
	s_wait_loadcnt 0x0
	v_add_f64_e32 v[61:62], v[45:46], v[47:48]
	v_add_f64_e32 v[86:87], v[53:54], v[29:30]
	;; [unrolled: 1-line block ×6, first 2 shown]
	v_cmp_gt_i16_e64 s2, 4, v85
	v_add_f64_e32 v[61:62], v[61:62], v[49:50]
	v_add_f64_e32 v[86:87], v[86:87], v[43:44]
	;; [unrolled: 1-line block ×17, first 2 shown]
	s_delay_alu instid0(VALU_DEP_4) | instskip(SKIP_1) | instid1(VALU_DEP_3)
	v_add_f64_e32 v[90:91], v[86:87], v[88:89]
	v_add_f64_e64 v[86:87], v[88:89], -v[86:87]
	v_add_f64_e32 v[61:62], v[61:62], v[59:60]
	s_delay_alu instid0(VALU_DEP_1) | instskip(NEXT) | instid1(VALU_DEP_1)
	v_add_f64_e32 v[61:62], v[61:62], v[55:56]
	v_add_f64_e32 v[61:62], v[61:62], v[23:24]
	s_delay_alu instid0(VALU_DEP_1) | instskip(NEXT) | instid1(VALU_DEP_1)
	v_add_f64_e32 v[61:62], v[90:91], v[61:62]
	v_div_scale_f64 v[90:91], null, v[61:62], v[61:62], 1.0
	v_div_scale_f64 v[100:101], vcc_lo, 1.0, v[61:62], 1.0
	s_delay_alu instid0(VALU_DEP_2) | instskip(NEXT) | instid1(TRANS32_DEP_1)
	v_rcp_f64_e32 v[92:93], v[90:91]
	v_fma_f64 v[94:95], -v[90:91], v[92:93], 1.0
	s_delay_alu instid0(VALU_DEP_1) | instskip(NEXT) | instid1(VALU_DEP_1)
	v_fma_f64 v[92:93], v[92:93], v[94:95], v[92:93]
	v_fma_f64 v[94:95], -v[90:91], v[92:93], 1.0
	s_delay_alu instid0(VALU_DEP_1) | instskip(SKIP_1) | instid1(VALU_DEP_2)
	v_fma_f64 v[92:93], v[92:93], v[94:95], v[92:93]
	v_add_f64_e32 v[94:95], v[41:42], v[49:50]
	v_mul_f64_e32 v[104:105], v[100:101], v[92:93]
	s_delay_alu instid0(VALU_DEP_2) | instskip(NEXT) | instid1(VALU_DEP_2)
	v_add_f64_e32 v[94:95], v[94:95], v[19:20]
	v_fma_f64 v[90:91], -v[90:91], v[104:105], v[100:101]
	s_delay_alu instid0(VALU_DEP_2) | instskip(SKIP_2) | instid1(VALU_DEP_3)
	v_add_f64_e32 v[94:95], v[25:26], v[94:95]
	v_add_f64_e32 v[100:101], v[31:32], v[102:103]
	s_wait_alu 0xfffd
	v_div_fmas_f64 v[90:91], v[90:91], v[92:93], v[104:105]
	s_delay_alu instid0(VALU_DEP_3) | instskip(NEXT) | instid1(VALU_DEP_3)
	v_add_f64_e32 v[92:93], v[94:95], v[23:24]
	v_add_f64_e32 v[94:95], v[55:56], v[100:101]
	s_delay_alu instid0(VALU_DEP_3) | instskip(SKIP_1) | instid1(VALU_DEP_3)
	v_div_fixup_f64 v[88:89], v[90:91], v[61:62], 1.0
	v_add_f64_e64 v[90:91], v[98:99], -v[96:97]
	v_add_f64_e64 v[92:93], v[94:95], -v[92:93]
	s_delay_alu instid0(VALU_DEP_3) | instskip(NEXT) | instid1(VALU_DEP_3)
	v_mul_f64_e32 v[86:87], v[86:87], v[88:89]
	v_mul_f64_e32 v[90:91], v[90:91], v[88:89]
	s_delay_alu instid0(VALU_DEP_3) | instskip(NEXT) | instid1(VALU_DEP_3)
	v_mul_f64_e32 v[88:89], v[92:93], v[88:89]
	v_cvt_f32_f64_e32 v18, v[86:87]
	s_delay_alu instid0(VALU_DEP_3) | instskip(NEXT) | instid1(VALU_DEP_3)
	v_cvt_f32_f64_e32 v86, v[90:91]
	v_cvt_f32_f64_e32 v87, v[88:89]
	s_and_saveexec_b32 s3, s2
	s_cbranch_execz .LBB3_81
; %bb.80:                               ;   in Loop: Header=BB3_12 Depth=3
	v_div_scale_f64 v[88:89], null, 0x40420000, 0x40420000, v[61:62]
	v_div_scale_f64 v[94:95], vcc_lo, v[61:62], 0x40420000, v[61:62]
	s_delay_alu instid0(VALU_DEP_4) | instskip(SKIP_3) | instid1(VALU_DEP_4)
	v_sub_f32_e64 v85, -v18, v86
	v_sub_f32_e32 v96, v86, v18
	v_sub_f32_e64 v97, -v18, v87
	v_sub_f32_e64 v100, -v86, v87
	v_dual_sub_f32 v106, v87, v86 :: v_dual_mul_f32 v85, 0x40400000, v85
	s_delay_alu instid0(VALU_DEP_4) | instskip(NEXT) | instid1(VALU_DEP_3)
	v_dual_sub_f32 v98, v87, v18 :: v_dual_mul_f32 v99, 0x40400000, v96
	v_dual_mul_f32 v101, 0x40400000, v97 :: v_dual_mul_f32 v104, 0x40400000, v100
	s_delay_alu instid0(VALU_DEP_3) | instskip(NEXT) | instid1(VALU_DEP_3)
	v_cvt_f64_f32_e32 v[96:97], v85
	v_mul_f32_e32 v85, 0x40400000, v98
	v_mul_f32_e32 v108, 0xc0400000, v86
	v_cvt_f64_f32_e32 v[98:99], v99
	v_cvt_f64_f32_e32 v[100:101], v101
	;; [unrolled: 1-line block ×4, first 2 shown]
	v_dual_mul_f32 v85, 0x40400000, v106 :: v_dual_mul_f32 v114, v108, v108
	v_fma_f32 v106, 0xc0400000, v18, 1.0
	v_fma_f32 v109, 0xc0400000, v86, 1.0
	;; [unrolled: 1-line block ×3, first 2 shown]
	v_mul_f32_e32 v112, 0xc0400000, v87
	v_cvt_f64_f32_e32 v[114:115], v114
	v_cvt_f64_f32_e32 v[106:107], v106
	;; [unrolled: 1-line block ×4, first 2 shown]
	v_mul_f32_e32 v136, v112, v112
	v_rcp_f64_e32 v[90:91], v[88:89]
	v_add_f64_e32 v[116:117], 1.0, v[96:97]
	v_mul_f64_e32 v[118:119], v[96:97], v[96:97]
	v_add_f64_e32 v[120:121], 1.0, v[98:99]
	v_mul_f64_e32 v[122:123], v[98:99], v[98:99]
	;; [unrolled: 2-line block ×5, first 2 shown]
	s_delay_alu instid0(TRANS32_DEP_1) | instskip(NEXT) | instid1(VALU_DEP_1)
	v_fma_f64 v[92:93], -v[88:89], v[90:91], 1.0
	v_fma_f64 v[90:91], v[90:91], v[92:93], v[90:91]
	s_delay_alu instid0(VALU_DEP_1) | instskip(NEXT) | instid1(VALU_DEP_1)
	v_fma_f64 v[92:93], -v[88:89], v[90:91], 1.0
	v_fma_f64 v[90:91], v[90:91], v[92:93], v[90:91]
	s_delay_alu instid0(VALU_DEP_1) | instskip(NEXT) | instid1(VALU_DEP_1)
	v_mul_f64_e32 v[92:93], v[94:95], v[90:91]
	v_fma_f64 v[88:89], -v[88:89], v[92:93], v[94:95]
	v_cvt_f64_f32_e32 v[94:95], v85
	v_mul_f32_e32 v85, 0xc0400000, v18
	s_delay_alu instid0(VALU_DEP_1) | instskip(NEXT) | instid1(VALU_DEP_1)
	v_mul_f32_e32 v85, v85, v85
	v_cvt_f64_f32_e32 v[112:113], v85
	v_mul_f32_e32 v85, v86, v86
	s_delay_alu instid0(VALU_DEP_1) | instskip(NEXT) | instid1(VALU_DEP_1)
	v_fmac_f32_e32 v85, v18, v18
	v_fmac_f32_e32 v85, v87, v87
	s_delay_alu instid0(VALU_DEP_1) | instskip(NEXT) | instid1(VALU_DEP_1)
	v_mul_f32_e32 v85, 0x40400000, v85
	v_cvt_f64_f32_e32 v[138:139], v85
	s_wait_alu 0xfffd
	v_div_fmas_f64 v[88:89], v[88:89], v[90:91], v[92:93]
	v_cvt_f64_f32_e32 v[90:91], v136
	v_add_f64_e32 v[92:93], 1.0, v[94:95]
	v_mul_f64_e32 v[136:137], v[94:95], v[94:95]
	v_fma_f64 v[106:107], v[112:113], 0.5, v[106:107]
	v_fma_f64 v[112:113], v[118:119], 0.5, v[116:117]
	;; [unrolled: 1-line block ×6, first 2 shown]
	v_cvt_f64_f32_e32 v[124:125], v18
	v_cvt_f64_f32_e32 v[126:127], v86
	v_cvt_f64_f32_e32 v[128:129], v87
	v_div_fixup_f64 v[61:62], v[88:89], 0x40420000, v[61:62]
	v_fma_f64 v[88:89], v[114:115], 0.5, v[108:109]
	v_fma_f64 v[90:91], v[90:91], 0.5, v[110:111]
	;; [unrolled: 1-line block ×3, first 2 shown]
	v_fma_f64 v[106:107], v[138:139], -0.5, v[106:107]
	v_fma_f64 v[108:109], v[138:139], -0.5, v[112:113]
	;; [unrolled: 1-line block ×6, first 2 shown]
	v_fma_f64 v[120:121], v[138:139], -0.5, 1.0
	v_add_f64_e32 v[118:119], v[61:62], v[61:62]
	v_fma_f64 v[88:89], v[138:139], -0.5, v[88:89]
	v_fma_f64 v[90:91], v[138:139], -0.5, v[90:91]
	;; [unrolled: 1-line block ×3, first 2 shown]
	v_mul_f64_e32 v[122:123], 0x40280000, v[61:62]
	v_mul_f64_e32 v[108:109], v[61:62], v[108:109]
	;; [unrolled: 1-line block ×11, first 2 shown]
	v_fma_f64 v[96:97], -v[118:119], v[96:97], v[108:109]
	v_fma_f64 v[98:99], -v[118:119], v[98:99], v[110:111]
	;; [unrolled: 1-line block ×5, first 2 shown]
	v_mul_f64_e32 v[108:109], s[14:15], v[108:109]
	v_mul_f64_e32 v[110:111], s[14:15], v[110:111]
	;; [unrolled: 1-line block ×5, first 2 shown]
	v_fma_f64 v[120:121], v[122:123], v[124:125], v[106:107]
	v_fma_f64 v[124:125], v[122:123], v[126:127], v[88:89]
	;; [unrolled: 1-line block ×3, first 2 shown]
	v_fma_f64 v[94:95], -v[118:119], v[94:95], v[61:62]
	v_mul_f64_e32 v[61:62], s[14:15], v[61:62]
	v_mul_f64_e32 v[92:93], s[14:15], v[92:93]
	;; [unrolled: 1-line block ×10, first 2 shown]
	v_fma_f64 v[29:30], v[1:2], v[29:30], v[108:109]
	v_fma_f64 v[43:44], v[1:2], v[43:44], v[110:111]
	;; [unrolled: 1-line block ×5, first 2 shown]
	v_mul_f64_e32 v[118:119], s[14:15], v[120:121]
	v_mul_f64_e32 v[120:121], s[14:15], v[124:125]
	v_mul_f64_e32 v[122:123], s[14:15], v[122:123]
	v_mul_f64_e32 v[94:95], s[14:15], v[94:95]
	v_fma_f64 v[37:38], v[1:2], v[37:38], v[61:62]
	v_fma_f64 v[45:46], v[1:2], v[45:46], v[92:93]
	;; [unrolled: 1-line block ×14, first 2 shown]
.LBB3_81:                               ;   in Loop: Header=BB3_12 Depth=3
	s_wait_alu 0xfffe
	s_or_b32 exec_lo, exec_lo, s3
	s_and_b32 s3, s73, s2
	s_wait_alu 0xfffe
	s_and_saveexec_b32 s2, s3
	s_cbranch_execz .LBB3_10
; %bb.82:                               ;   in Loop: Header=BB3_12 Depth=3
	v_add_co_u32 v61, vcc_lo, s18, v57
	s_wait_alu 0xfffd
	v_add_co_ci_u32_e64 v62, null, s19, v58, vcc_lo
	v_add_co_u32 v88, vcc_lo, s16, v57
	s_wait_alu 0xfffd
	v_add_co_ci_u32_e64 v89, null, s17, v58, vcc_lo
	;; [unrolled: 3-line block ×3, first 2 shown]
	global_store_b32 v[88:89], v18, off
	global_store_b32 v[61:62], v86, off
	;; [unrolled: 1-line block ×3, first 2 shown]
	s_branch .LBB3_10
.LBB3_83:                               ;   in Loop: Header=BB3_12 Depth=3
	v_cmp_eq_u16_e32 vcc_lo, 3, v18
	s_and_b32 s2, vcc_lo, exec_lo
	s_wait_alu 0xfffe
	s_and_not1_saveexec_b32 s3, s3
	s_cbranch_execz .LBB3_58
.LBB3_84:                               ;   in Loop: Header=BB3_12 Depth=3
	s_mov_b32 s84, s2
	s_mov_b32 s12, exec_lo
	v_cmpx_eq_u16_e32 1, v18
	s_cbranch_execz .LBB3_86
; %bb.85:                               ;   in Loop: Header=BB3_12 Depth=3
	s_wait_loadcnt 0x0
	v_add_f64_e32 v[53:54], v[4:5], v[53:54]
	s_or_b32 s84, s2, exec_lo
.LBB3_86:                               ;   in Loop: Header=BB3_12 Depth=3
	s_wait_alu 0xfffe
	s_or_b32 exec_lo, exec_lo, s12
	s_delay_alu instid0(SALU_CYCLE_1)
	s_and_not1_b32 s2, s2, exec_lo
	s_and_b32 s12, s84, exec_lo
	s_wait_alu 0xfffe
	s_or_b32 s2, s2, s12
	s_or_b32 exec_lo, exec_lo, s3
	s_wait_alu 0xfffe
	s_and_saveexec_b32 s3, s2
	s_cbranch_execnz .LBB3_59
	s_branch .LBB3_60
.LBB3_87:                               ;   in Loop: Header=BB3_12 Depth=3
	s_mov_b32 s2, -1
	s_mov_b32 s85, exec_lo
	v_cmpx_lt_i16_e32 4, v18
; %bb.88:                               ;   in Loop: Header=BB3_12 Depth=3
	v_cmp_eq_u16_e32 vcc_lo, 5, v18
	s_xor_b32 s2, exec_lo, -1
	s_and_b32 s84, vcc_lo, exec_lo
; %bb.89:                               ;   in Loop: Header=BB3_12 Depth=3
	s_or_b32 exec_lo, exec_lo, s85
	s_wait_alu 0xfffe
	s_and_b32 s2, s2, exec_lo
	s_and_b32 s84, s84, exec_lo
	s_and_not1_saveexec_b32 s3, s3
	s_cbranch_execz .LBB3_62
.LBB3_90:                               ;   in Loop: Header=BB3_12 Depth=3
	v_cmp_eq_u16_e32 vcc_lo, 1, v18
	s_and_not1_b32 s12, s84, exec_lo
	s_and_b32 s13, vcc_lo, exec_lo
	s_wait_alu 0xfffe
	s_or_b32 s84, s12, s13
	s_or_b32 exec_lo, exec_lo, s3
	s_and_saveexec_b32 s3, s84
	s_cbranch_execz .LBB3_63
.LBB3_91:                               ;   in Loop: Header=BB3_12 Depth=3
	v_and_b32_e32 v61, 0xff, v86
	s_mov_b32 s84, s2
	s_mov_b32 s12, exec_lo
	s_delay_alu instid0(VALU_DEP_1)
	v_cmpx_lt_i16_e32 3, v61
	s_wait_alu 0xfffe
	s_xor_b32 s85, exec_lo, s12
; %bb.92:                               ;   in Loop: Header=BB3_12 Depth=3
	v_cmp_eq_u16_e32 vcc_lo, 4, v61
	s_and_not1_b32 s12, s2, exec_lo
                                        ; implicit-def: $vgpr61
	s_and_b32 s13, vcc_lo, exec_lo
	s_wait_alu 0xfffe
	s_or_b32 s84, s12, s13
; %bb.93:                               ;   in Loop: Header=BB3_12 Depth=3
	s_and_not1_saveexec_b32 s85, s85
; %bb.94:                               ;   in Loop: Header=BB3_12 Depth=3
	v_cmp_eq_u16_e32 vcc_lo, 1, v61
	s_and_not1_b32 s12, s84, exec_lo
	s_and_b32 s13, vcc_lo, exec_lo
	s_wait_alu 0xfffe
	s_or_b32 s84, s12, s13
; %bb.95:                               ;   in Loop: Header=BB3_12 Depth=3
	s_or_b32 exec_lo, exec_lo, s85
	s_delay_alu instid0(SALU_CYCLE_1)
	s_and_not1_b32 s2, s2, exec_lo
	s_and_b32 s12, s84, exec_lo
	s_wait_loadcnt 0x0
	v_add_f64_e32 v[41:42], v[6:7], v[41:42]
	s_wait_alu 0xfffe
	s_or_b32 s2, s2, s12
	s_or_b32 exec_lo, exec_lo, s3
	s_wait_alu 0xfffe
	s_and_saveexec_b32 s3, s2
	s_cbranch_execnz .LBB3_64
	s_branch .LBB3_65
.LBB3_96:                               ;   in Loop: Header=BB3_12 Depth=3
	s_mov_b32 s85, -1
	s_mov_b32 s84, exec_lo
                                        ; implicit-def: $vgpr61_vgpr62
	v_cmpx_lt_i16_e32 3, v18
	s_cbranch_execz .LBB3_102
; %bb.97:                               ;   in Loop: Header=BB3_12 Depth=3
	s_mov_b32 s85, 0
	s_mov_b32 s12, exec_lo
	v_cmpx_lt_i16_e32 4, v18
	s_wait_alu 0xfffe
	s_xor_b32 s12, exec_lo, s12
; %bb.98:                               ;   in Loop: Header=BB3_12 Depth=3
	v_cmp_eq_u16_e64 s3, 5, v18
	s_and_b32 s101, s3, exec_lo
; %bb.99:                               ;   in Loop: Header=BB3_12 Depth=3
	s_wait_alu 0xfffe
	s_or_saveexec_b32 s3, s12
	s_wait_loadcnt 0x0
	v_dual_mov_b32 v62, v60 :: v_dual_mov_b32 v61, v59
	s_wait_alu 0xfffe
	s_xor_b32 exec_lo, exec_lo, s3
	s_cbranch_execz .LBB3_101
; %bb.100:                              ;   in Loop: Header=BB3_12 Depth=3
	v_add_f64_e32 v[61:62], 0, v[59:60]
	s_mov_b32 s85, exec_lo
.LBB3_101:                              ;   in Loop: Header=BB3_12 Depth=3
	s_or_b32 exec_lo, exec_lo, s3
	s_delay_alu instid0(SALU_CYCLE_1)
	s_and_b32 s101, s101, exec_lo
	s_and_b32 s102, s85, exec_lo
	s_xor_b32 s85, exec_lo, -1
.LBB3_102:                              ;   in Loop: Header=BB3_12 Depth=3
	s_or_b32 exec_lo, exec_lo, s84
	s_delay_alu instid0(SALU_CYCLE_1)
	s_and_b32 s101, s101, exec_lo
	s_and_b32 s102, s102, exec_lo
	;; [unrolled: 1-line block ×3, first 2 shown]
	s_wait_alu 0xfffe
	s_and_not1_saveexec_b32 vcc_hi, vcc_hi
	s_cbranch_execz .LBB3_67
.LBB3_103:                              ;   in Loop: Header=BB3_12 Depth=3
	v_cmp_lt_i16_e64 s3, 1, v18
	s_and_saveexec_b32 s12, s3
	s_wait_alu 0xfffe
	s_xor_b32 s3, exec_lo, s12
	s_cbranch_execz .LBB3_105
; %bb.104:                              ;   in Loop: Header=BB3_12 Depth=3
	s_mov_b32 s103, exec_lo
	s_wait_loadcnt 0x0
	v_add_f64_e32 v[35:36], 0, v[35:36]
.LBB3_105:                              ;   in Loop: Header=BB3_12 Depth=3
	s_wait_alu 0xfffe
	s_and_not1_saveexec_b32 s84, s3
	s_cbranch_execz .LBB3_109
; %bb.106:                              ;   in Loop: Header=BB3_12 Depth=3
	s_mov_b32 s85, s103
	s_mov_b32 s12, exec_lo
	v_cmpx_eq_u16_e32 0, v18
	s_cbranch_execz .LBB3_108
; %bb.107:                              ;   in Loop: Header=BB3_12 Depth=3
	s_wait_loadcnt 0x0
	v_add_f64_e32 v[33:34], v[8:9], v[33:34]
	s_or_b32 s85, s103, exec_lo
.LBB3_108:                              ;   in Loop: Header=BB3_12 Depth=3
	s_wait_alu 0xfffe
	s_or_b32 exec_lo, exec_lo, s12
	s_delay_alu instid0(SALU_CYCLE_1)
	s_and_not1_b32 s3, s103, exec_lo
	s_and_b32 s12, s85, exec_lo
	s_wait_alu 0xfffe
	s_or_b32 s103, s3, s12
.LBB3_109:                              ;   in Loop: Header=BB3_12 Depth=3
	s_or_b32 exec_lo, exec_lo, s84
	s_mov_b32 s3, 0
	s_mov_b32 s85, s104
	s_and_saveexec_b32 s84, s103
	s_cbranch_execz .LBB3_115
; %bb.110:                              ;   in Loop: Header=BB3_12 Depth=3
	v_and_b32_e32 v61, 0xff, v86
	s_mov_b32 s85, 0
	s_mov_b32 s12, exec_lo
	s_delay_alu instid0(VALU_DEP_1)
	v_cmpx_lt_i16_e32 1, v61
	s_wait_alu 0xfffe
	s_xor_b32 s12, exec_lo, s12
; %bb.111:                              ;   in Loop: Header=BB3_12 Depth=3
	v_cmp_eq_u16_e64 s3, 2, v61
                                        ; implicit-def: $vgpr61
	s_and_b32 s85, s3, exec_lo
; %bb.112:                              ;   in Loop: Header=BB3_12 Depth=3
	s_wait_alu 0xfffe
	s_or_saveexec_b32 s103, s12
	s_mov_b32 s3, s104
	s_xor_b32 exec_lo, exec_lo, s103
; %bb.113:                              ;   in Loop: Header=BB3_12 Depth=3
	v_cmp_eq_u16_e64 s3, 0, v61
	s_and_not1_b32 s12, s104, exec_lo
	s_wait_alu 0xfffe
	s_and_b32 s3, s3, exec_lo
	s_wait_alu 0xfffe
	s_or_b32 s3, s12, s3
; %bb.114:                              ;   in Loop: Header=BB3_12 Depth=3
	s_or_b32 exec_lo, exec_lo, s103
	s_delay_alu instid0(SALU_CYCLE_1)
	s_and_not1_b32 s12, s104, exec_lo
	s_wait_alu 0xfffe
	s_and_b32 s13, s3, exec_lo
	s_wait_loadcnt 0x0
	v_add_f64_e32 v[51:52], v[12:13], v[51:52]
	s_and_b32 s3, s85, exec_lo
	s_wait_alu 0xfffe
	s_or_b32 s85, s12, s13
.LBB3_115:                              ;   in Loop: Header=BB3_12 Depth=3
	s_or_b32 exec_lo, exec_lo, s84
	s_wait_loadcnt 0x0
	v_dual_mov_b32 v62, v60 :: v_dual_mov_b32 v61, v59
	s_and_not1_b32 s12, s104, exec_lo
	s_and_b32 s13, s85, exec_lo
	s_wait_alu 0xfffe
	s_and_b32 s103, s3, exec_lo
	s_or_b32 s104, s12, s13
	s_or_b32 exec_lo, exec_lo, vcc_hi
	s_and_saveexec_b32 s84, s104
	s_cbranch_execnz .LBB3_68
	s_branch .LBB3_69
.LBB3_116:                              ;   in Loop: Header=BB3_12 Depth=3
	v_cmp_eq_u16_e64 s3, 2, v18
	v_add_f64_e32 v[59:60], 0, v[55:56]
	s_and_b32 s104, s3, exec_lo
	s_or_b32 exec_lo, exec_lo, s84
	s_wait_alu 0xfffe
	s_and_saveexec_b32 s84, vcc_hi
	s_cbranch_execz .LBB3_75
.LBB3_117:                              ;   in Loop: Header=BB3_12 Depth=3
	v_cmp_eq_u16_e64 s3, 0, v63
	v_dual_mov_b32 v60, v56 :: v_dual_mov_b32 v59, v55
	v_dual_mov_b32 v32, v15 :: v_dual_mov_b32 v31, v14
	s_and_not1_b32 s12, s101, exec_lo
	s_and_b32 s3, s3, exec_lo
	s_wait_alu 0xfffe
	s_or_b32 s101, s12, s3
	s_or_b32 exec_lo, exec_lo, s84
	s_and_saveexec_b32 s84, s101
	s_cbranch_execz .LBB3_76
.LBB3_118:                              ;   in Loop: Header=BB3_12 Depth=3
	v_add_f64_e32 v[25:26], v[10:11], v[25:26]
	v_cmp_eq_u16_e64 s3, 5, v18
	v_dual_mov_b32 v60, v56 :: v_dual_mov_b32 v59, v55
	s_and_not1_b32 s12, s104, exec_lo
	s_and_b32 s3, s3, exec_lo
	s_wait_alu 0xfffe
	s_or_b32 s104, s12, s3
	s_or_b32 exec_lo, exec_lo, s84
	s_and_saveexec_b32 s3, s104
	s_cbranch_execnz .LBB3_77
	s_branch .LBB3_78
.LBB3_119:
	s_nop 0
	s_sendmsg sendmsg(MSG_DEALLOC_VGPRS)
	s_endpgm
	.section	.rodata,"a",@progbits
	.p2align	6, 0x0
	.amdhsa_kernel _Z20collide_and_stream_gIL12lattice_type19EEv8lbm_vars5BoxCUddbi
		.amdhsa_group_segment_fixed_size 0
		.amdhsa_private_segment_fixed_size 0
		.amdhsa_kernarg_size 424
		.amdhsa_user_sgpr_count 2
		.amdhsa_user_sgpr_dispatch_ptr 0
		.amdhsa_user_sgpr_queue_ptr 0
		.amdhsa_user_sgpr_kernarg_segment_ptr 1
		.amdhsa_user_sgpr_dispatch_id 0
		.amdhsa_user_sgpr_private_segment_size 0
		.amdhsa_wavefront_size32 1
		.amdhsa_uses_dynamic_stack 0
		.amdhsa_enable_private_segment 0
		.amdhsa_system_sgpr_workgroup_id_x 1
		.amdhsa_system_sgpr_workgroup_id_y 1
		.amdhsa_system_sgpr_workgroup_id_z 1
		.amdhsa_system_sgpr_workgroup_info 0
		.amdhsa_system_vgpr_workitem_id 1
		.amdhsa_next_free_vgpr 141
		.amdhsa_next_free_sgpr 105
		.amdhsa_reserve_vcc 1
		.amdhsa_float_round_mode_32 0
		.amdhsa_float_round_mode_16_64 0
		.amdhsa_float_denorm_mode_32 3
		.amdhsa_float_denorm_mode_16_64 3
		.amdhsa_fp16_overflow 0
		.amdhsa_workgroup_processor_mode 1
		.amdhsa_memory_ordered 1
		.amdhsa_forward_progress 1
		.amdhsa_inst_pref_size 64
		.amdhsa_round_robin_scheduling 0
		.amdhsa_exception_fp_ieee_invalid_op 0
		.amdhsa_exception_fp_denorm_src 0
		.amdhsa_exception_fp_ieee_div_zero 0
		.amdhsa_exception_fp_ieee_overflow 0
		.amdhsa_exception_fp_ieee_underflow 0
		.amdhsa_exception_fp_ieee_inexact 0
		.amdhsa_exception_int_div_zero 0
	.end_amdhsa_kernel
	.section	.text._Z20collide_and_stream_gIL12lattice_type19EEv8lbm_vars5BoxCUddbi,"axG",@progbits,_Z20collide_and_stream_gIL12lattice_type19EEv8lbm_vars5BoxCUddbi,comdat
.Lfunc_end3:
	.size	_Z20collide_and_stream_gIL12lattice_type19EEv8lbm_vars5BoxCUddbi, .Lfunc_end3-_Z20collide_and_stream_gIL12lattice_type19EEv8lbm_vars5BoxCUddbi
                                        ; -- End function
	.set _Z20collide_and_stream_gIL12lattice_type19EEv8lbm_vars5BoxCUddbi.num_vgpr, 141
	.set _Z20collide_and_stream_gIL12lattice_type19EEv8lbm_vars5BoxCUddbi.num_agpr, 0
	.set _Z20collide_and_stream_gIL12lattice_type19EEv8lbm_vars5BoxCUddbi.numbered_sgpr, 105
	.set _Z20collide_and_stream_gIL12lattice_type19EEv8lbm_vars5BoxCUddbi.num_named_barrier, 0
	.set _Z20collide_and_stream_gIL12lattice_type19EEv8lbm_vars5BoxCUddbi.private_seg_size, 0
	.set _Z20collide_and_stream_gIL12lattice_type19EEv8lbm_vars5BoxCUddbi.uses_vcc, 1
	.set _Z20collide_and_stream_gIL12lattice_type19EEv8lbm_vars5BoxCUddbi.uses_flat_scratch, 0
	.set _Z20collide_and_stream_gIL12lattice_type19EEv8lbm_vars5BoxCUddbi.has_dyn_sized_stack, 0
	.set _Z20collide_and_stream_gIL12lattice_type19EEv8lbm_vars5BoxCUddbi.has_recursion, 0
	.set _Z20collide_and_stream_gIL12lattice_type19EEv8lbm_vars5BoxCUddbi.has_indirect_call, 0
	.section	.AMDGPU.csdata,"",@progbits
; Kernel info:
; codeLenInByte = 8076
; TotalNumSgprs: 107
; NumVgprs: 141
; ScratchSize: 0
; MemoryBound: 0
; FloatMode: 240
; IeeeMode: 1
; LDSByteSize: 0 bytes/workgroup (compile time only)
; SGPRBlocks: 0
; VGPRBlocks: 17
; NumSGPRsForWavesPerEU: 107
; NumVGPRsForWavesPerEU: 141
; Occupancy: 10
; WaveLimiterHint : 1
; COMPUTE_PGM_RSRC2:SCRATCH_EN: 0
; COMPUTE_PGM_RSRC2:USER_SGPR: 2
; COMPUTE_PGM_RSRC2:TRAP_HANDLER: 0
; COMPUTE_PGM_RSRC2:TGID_X_EN: 1
; COMPUTE_PGM_RSRC2:TGID_Y_EN: 1
; COMPUTE_PGM_RSRC2:TGID_Z_EN: 1
; COMPUTE_PGM_RSRC2:TIDIG_COMP_CNT: 1
	.text
	.p2alignl 7, 3214868480
	.fill 96, 4, 3214868480
	.section	.AMDGPU.gpr_maximums,"",@progbits
	.set amdgpu.max_num_vgpr, 0
	.set amdgpu.max_num_agpr, 0
	.set amdgpu.max_num_sgpr, 0
	.text
	.protected	C_dirs                  ; @C_dirs
	.type	C_dirs,@object
	.section	.rodata,"a",@progbits
	.globl	C_dirs
	.p2align	4, 0x0
C_dirs:
	.zero	81
	.size	C_dirs, 81

	.type	_ZL3C_p,@object                 ; @_ZL3C_p
	.globl	_ZL3C_p
_ZL3C_p:
	.zero	12
	.size	_ZL3C_p, 12

	.type	__hip_cuid_3b87ec12132f30eb,@object ; @__hip_cuid_3b87ec12132f30eb
	.section	.bss,"aw",@nobits
	.globl	__hip_cuid_3b87ec12132f30eb
__hip_cuid_3b87ec12132f30eb:
	.byte	0                               ; 0x0
	.size	__hip_cuid_3b87ec12132f30eb, 1

	.ident	"AMD clang version 22.0.0git (https://github.com/RadeonOpenCompute/llvm-project roc-7.2.4 26084 f58b06dce1f9c15707c5f808fd002e18c2accf7e)"
	.section	".note.GNU-stack","",@progbits
	.addrsig
	.addrsig_sym C_dirs
	.addrsig_sym _ZL3C_p
	.addrsig_sym __hip_cuid_3b87ec12132f30eb
	.amdgpu_metadata
---
amdhsa.kernels:
  - .args:
      - .address_space:  global
        .offset:         0
        .size:           8
        .value_kind:     global_buffer
      - .actual_access:  write_only
        .address_space:  global
        .offset:         8
        .size:           8
        .value_kind:     global_buffer
      - .actual_access:  write_only
        .address_space:  global
        .offset:         16
        .size:           8
        .value_kind:     global_buffer
      - .offset:         24
        .size:           24
        .value_kind:     by_value
      - .offset:         48
        .size:           24
        .value_kind:     by_value
      - .offset:         72
        .size:           4
        .value_kind:     by_value
      - .offset:         76
        .size:           4
        .value_kind:     by_value
      - .offset:         80
        .size:           4
        .value_kind:     by_value
      - .offset:         84
        .size:           4
        .value_kind:     by_value
      - .offset:         88
        .size:           4
        .value_kind:     hidden_block_count_x
      - .offset:         92
        .size:           4
        .value_kind:     hidden_block_count_y
      - .offset:         96
        .size:           4
        .value_kind:     hidden_block_count_z
      - .offset:         100
        .size:           2
        .value_kind:     hidden_group_size_x
      - .offset:         102
        .size:           2
        .value_kind:     hidden_group_size_y
      - .offset:         104
        .size:           2
        .value_kind:     hidden_group_size_z
      - .offset:         106
        .size:           2
        .value_kind:     hidden_remainder_x
      - .offset:         108
        .size:           2
        .value_kind:     hidden_remainder_y
      - .offset:         110
        .size:           2
        .value_kind:     hidden_remainder_z
      - .offset:         128
        .size:           8
        .value_kind:     hidden_global_offset_x
      - .offset:         136
        .size:           8
        .value_kind:     hidden_global_offset_y
      - .offset:         144
        .size:           8
        .value_kind:     hidden_global_offset_z
      - .offset:         152
        .size:           2
        .value_kind:     hidden_grid_dims
    .group_segment_fixed_size: 0
    .kernarg_segment_align: 8
    .kernarg_segment_size: 344
    .language:       OpenCL C
    .language_version:
      - 2
      - 0
    .max_flat_workgroup_size: 1024
    .name:           _Z9make_flagPcPiS_5BoxCU10outer_walliiii
    .private_segment_fixed_size: 0
    .sgpr_count:     92
    .sgpr_spill_count: 0
    .symbol:         _Z9make_flagPcPiS_5BoxCU10outer_walliiii.kd
    .uniform_work_group_size: 1
    .uses_dynamic_stack: false
    .vgpr_count:     25
    .vgpr_spill_count: 0
    .wavefront_size: 32
    .workgroup_processor_mode: 1
  - .args:
      - .address_space:  global
        .offset:         0
        .size:           8
        .value_kind:     global_buffer
      - .address_space:  global
        .offset:         8
        .size:           8
        .value_kind:     global_buffer
      - .address_space:  global
        .offset:         16
        .size:           8
        .value_kind:     global_buffer
      - .offset:         24
        .size:           24
        .value_kind:     by_value
      - .offset:         48
        .size:           4
        .value_kind:     by_value
      - .offset:         56
        .size:           4
        .value_kind:     hidden_block_count_x
      - .offset:         60
        .size:           4
        .value_kind:     hidden_block_count_y
      - .offset:         64
        .size:           4
        .value_kind:     hidden_block_count_z
      - .offset:         68
        .size:           2
        .value_kind:     hidden_group_size_x
      - .offset:         70
        .size:           2
        .value_kind:     hidden_group_size_y
      - .offset:         72
        .size:           2
        .value_kind:     hidden_group_size_z
      - .offset:         74
        .size:           2
        .value_kind:     hidden_remainder_x
      - .offset:         76
        .size:           2
        .value_kind:     hidden_remainder_y
      - .offset:         78
        .size:           2
        .value_kind:     hidden_remainder_z
      - .offset:         96
        .size:           8
        .value_kind:     hidden_global_offset_x
      - .offset:         104
        .size:           8
        .value_kind:     hidden_global_offset_y
      - .offset:         112
        .size:           8
        .value_kind:     hidden_global_offset_z
      - .offset:         120
        .size:           2
        .value_kind:     hidden_grid_dims
    .group_segment_fixed_size: 0
    .kernarg_segment_align: 8
    .kernarg_segment_size: 312
    .language:       OpenCL C
    .language_version:
      - 2
      - 0
    .max_flat_workgroup_size: 1024
    .name:           _Z9find_wallILi19EEvPcS0_Pi5BoxCUi
    .private_segment_fixed_size: 0
    .sgpr_count:     104
    .sgpr_spill_count: 0
    .symbol:         _Z9find_wallILi19EEvPcS0_Pi5BoxCUi.kd
    .uniform_work_group_size: 1
    .uses_dynamic_stack: false
    .vgpr_count:     43
    .vgpr_spill_count: 0
    .wavefront_size: 32
    .workgroup_processor_mode: 1
  - .args:
      - .offset:         0
        .size:           120
        .value_kind:     by_value
      - .offset:         120
        .size:           24
        .value_kind:     by_value
      - .offset:         144
        .size:           24
        .value_kind:     by_value
      - .offset:         168
        .size:           8
        .value_kind:     by_value
      - .offset:         176
        .size:           4
        .value_kind:     by_value
      - .offset:         180
        .size:           4
        .value_kind:     by_value
      - .offset:         184
        .size:           4
        .value_kind:     by_value
      - .offset:         192
        .size:           8
        .value_kind:     by_value
      - .offset:         200
        .size:           4
        .value_kind:     hidden_block_count_x
      - .offset:         204
        .size:           4
        .value_kind:     hidden_block_count_y
      - .offset:         208
        .size:           4
        .value_kind:     hidden_block_count_z
      - .offset:         212
        .size:           2
        .value_kind:     hidden_group_size_x
      - .offset:         214
        .size:           2
        .value_kind:     hidden_group_size_y
      - .offset:         216
        .size:           2
        .value_kind:     hidden_group_size_z
      - .offset:         218
        .size:           2
        .value_kind:     hidden_remainder_x
      - .offset:         220
        .size:           2
        .value_kind:     hidden_remainder_y
      - .offset:         222
        .size:           2
        .value_kind:     hidden_remainder_z
      - .offset:         240
        .size:           8
        .value_kind:     hidden_global_offset_x
      - .offset:         248
        .size:           8
        .value_kind:     hidden_global_offset_y
      - .offset:         256
        .size:           8
        .value_kind:     hidden_global_offset_z
      - .offset:         264
        .size:           2
        .value_kind:     hidden_grid_dims
    .group_segment_fixed_size: 0
    .kernarg_segment_align: 8
    .kernarg_segment_size: 456
    .language:       OpenCL C
    .language_version:
      - 2
      - 0
    .max_flat_workgroup_size: 1024
    .name:           _Z15init_velocity_gIL12lattice_type19EEv8lbm_vars5BoxCUS2_dfffd
    .private_segment_fixed_size: 0
    .sgpr_count:     76
    .sgpr_spill_count: 0
    .symbol:         _Z15init_velocity_gIL12lattice_type19EEv8lbm_vars5BoxCUS2_dfffd.kd
    .uniform_work_group_size: 1
    .uses_dynamic_stack: false
    .vgpr_count:     144
    .vgpr_spill_count: 0
    .wavefront_size: 32
    .workgroup_processor_mode: 1
  - .args:
      - .offset:         0
        .size:           120
        .value_kind:     by_value
      - .offset:         120
        .size:           24
        .value_kind:     by_value
      - .offset:         144
        .size:           8
        .value_kind:     by_value
      - .offset:         152
        .size:           8
        .value_kind:     by_value
      - .offset:         160
        .size:           1
        .value_kind:     by_value
      - .offset:         164
        .size:           4
        .value_kind:     by_value
      - .offset:         168
        .size:           4
        .value_kind:     hidden_block_count_x
      - .offset:         172
        .size:           4
        .value_kind:     hidden_block_count_y
      - .offset:         176
        .size:           4
        .value_kind:     hidden_block_count_z
      - .offset:         180
        .size:           2
        .value_kind:     hidden_group_size_x
      - .offset:         182
        .size:           2
        .value_kind:     hidden_group_size_y
      - .offset:         184
        .size:           2
        .value_kind:     hidden_group_size_z
      - .offset:         186
        .size:           2
        .value_kind:     hidden_remainder_x
      - .offset:         188
        .size:           2
        .value_kind:     hidden_remainder_y
      - .offset:         190
        .size:           2
        .value_kind:     hidden_remainder_z
      - .offset:         208
        .size:           8
        .value_kind:     hidden_global_offset_x
      - .offset:         216
        .size:           8
        .value_kind:     hidden_global_offset_y
      - .offset:         224
        .size:           8
        .value_kind:     hidden_global_offset_z
      - .offset:         232
        .size:           2
        .value_kind:     hidden_grid_dims
    .group_segment_fixed_size: 0
    .kernarg_segment_align: 8
    .kernarg_segment_size: 424
    .language:       OpenCL C
    .language_version:
      - 2
      - 0
    .max_flat_workgroup_size: 64
    .name:           _Z20collide_and_stream_gIL12lattice_type19EEv8lbm_vars5BoxCUddbi
    .private_segment_fixed_size: 0
    .sgpr_count:     107
    .sgpr_spill_count: 2
    .symbol:         _Z20collide_and_stream_gIL12lattice_type19EEv8lbm_vars5BoxCUddbi.kd
    .uniform_work_group_size: 1
    .uses_dynamic_stack: false
    .vgpr_count:     141
    .vgpr_spill_count: 0
    .wavefront_size: 32
    .workgroup_processor_mode: 1
amdhsa.target:   amdgcn-amd-amdhsa--gfx1201
amdhsa.version:
  - 1
  - 2
...

	.end_amdgpu_metadata
